;; amdgpu-corpus repo=ROCm/hipCUB kind=compiled arch=gfx906 opt=O3
	.amdgcn_target "amdgcn-amd-amdhsa--gfx906"
	.amdhsa_code_object_version 6
	.section	.text._Z21shuffle_offset_kernelILj32E12hip_bfloat16EvPT0_S2_i,"axG",@progbits,_Z21shuffle_offset_kernelILj32E12hip_bfloat16EvPT0_S2_i,comdat
	.protected	_Z21shuffle_offset_kernelILj32E12hip_bfloat16EvPT0_S2_i ; -- Begin function _Z21shuffle_offset_kernelILj32E12hip_bfloat16EvPT0_S2_i
	.globl	_Z21shuffle_offset_kernelILj32E12hip_bfloat16EvPT0_S2_i
	.p2align	8
	.type	_Z21shuffle_offset_kernelILj32E12hip_bfloat16EvPT0_S2_i,@function
_Z21shuffle_offset_kernelILj32E12hip_bfloat16EvPT0_S2_i: ; @_Z21shuffle_offset_kernelILj32E12hip_bfloat16EvPT0_S2_i
; %bb.0:
	s_load_dwordx4 s[0:3], s[4:5], 0x0
	s_load_dword s7, s[4:5], 0x10
	v_lshl_or_b32 v1, s6, 5, v0
	v_mov_b32_e32 v2, 0
	v_lshlrev_b64 v[1:2], 1, v[1:2]
	s_waitcnt lgkmcnt(0)
	v_mov_b32_e32 v4, s1
	v_add_co_u32_e32 v3, vcc, s0, v1
	v_addc_co_u32_e32 v4, vcc, v4, v2, vcc
	global_load_ushort v4, v[3:4], off
	v_lshlrev_b32_e32 v3, 1, v0
	v_add_u32_e32 v0, s7, v0
	v_cmp_gt_u32_e32 vcc, 32, v0
	s_waitcnt vmcnt(0)
	ds_write_b16 v3, v4
	s_waitcnt lgkmcnt(0)
	; wave barrier
	s_and_saveexec_b64 s[0:1], vcc
	s_cbranch_execz .LBB0_2
; %bb.1:
	v_lshl_add_u32 v0, s7, 1, v3
	ds_read_u16 v4, v0
	v_mov_b32_e32 v3, s3
	v_add_co_u32_e32 v0, vcc, s2, v1
	v_addc_co_u32_e32 v1, vcc, v3, v2, vcc
	s_waitcnt lgkmcnt(0)
	global_store_short v[0:1], v4, off
.LBB0_2:
	s_endpgm
	.section	.rodata,"a",@progbits
	.p2align	6, 0x0
	.amdhsa_kernel _Z21shuffle_offset_kernelILj32E12hip_bfloat16EvPT0_S2_i
		.amdhsa_group_segment_fixed_size 64
		.amdhsa_private_segment_fixed_size 0
		.amdhsa_kernarg_size 20
		.amdhsa_user_sgpr_count 6
		.amdhsa_user_sgpr_private_segment_buffer 1
		.amdhsa_user_sgpr_dispatch_ptr 0
		.amdhsa_user_sgpr_queue_ptr 0
		.amdhsa_user_sgpr_kernarg_segment_ptr 1
		.amdhsa_user_sgpr_dispatch_id 0
		.amdhsa_user_sgpr_flat_scratch_init 0
		.amdhsa_user_sgpr_private_segment_size 0
		.amdhsa_uses_dynamic_stack 0
		.amdhsa_system_sgpr_private_segment_wavefront_offset 0
		.amdhsa_system_sgpr_workgroup_id_x 1
		.amdhsa_system_sgpr_workgroup_id_y 0
		.amdhsa_system_sgpr_workgroup_id_z 0
		.amdhsa_system_sgpr_workgroup_info 0
		.amdhsa_system_vgpr_workitem_id 0
		.amdhsa_next_free_vgpr 5
		.amdhsa_next_free_sgpr 8
		.amdhsa_reserve_vcc 1
		.amdhsa_reserve_flat_scratch 0
		.amdhsa_float_round_mode_32 0
		.amdhsa_float_round_mode_16_64 0
		.amdhsa_float_denorm_mode_32 3
		.amdhsa_float_denorm_mode_16_64 3
		.amdhsa_dx10_clamp 1
		.amdhsa_ieee_mode 1
		.amdhsa_fp16_overflow 0
		.amdhsa_exception_fp_ieee_invalid_op 0
		.amdhsa_exception_fp_denorm_src 0
		.amdhsa_exception_fp_ieee_div_zero 0
		.amdhsa_exception_fp_ieee_overflow 0
		.amdhsa_exception_fp_ieee_underflow 0
		.amdhsa_exception_fp_ieee_inexact 0
		.amdhsa_exception_int_div_zero 0
	.end_amdhsa_kernel
	.section	.text._Z21shuffle_offset_kernelILj32E12hip_bfloat16EvPT0_S2_i,"axG",@progbits,_Z21shuffle_offset_kernelILj32E12hip_bfloat16EvPT0_S2_i,comdat
.Lfunc_end0:
	.size	_Z21shuffle_offset_kernelILj32E12hip_bfloat16EvPT0_S2_i, .Lfunc_end0-_Z21shuffle_offset_kernelILj32E12hip_bfloat16EvPT0_S2_i
                                        ; -- End function
	.set _Z21shuffle_offset_kernelILj32E12hip_bfloat16EvPT0_S2_i.num_vgpr, 5
	.set _Z21shuffle_offset_kernelILj32E12hip_bfloat16EvPT0_S2_i.num_agpr, 0
	.set _Z21shuffle_offset_kernelILj32E12hip_bfloat16EvPT0_S2_i.numbered_sgpr, 8
	.set _Z21shuffle_offset_kernelILj32E12hip_bfloat16EvPT0_S2_i.num_named_barrier, 0
	.set _Z21shuffle_offset_kernelILj32E12hip_bfloat16EvPT0_S2_i.private_seg_size, 0
	.set _Z21shuffle_offset_kernelILj32E12hip_bfloat16EvPT0_S2_i.uses_vcc, 1
	.set _Z21shuffle_offset_kernelILj32E12hip_bfloat16EvPT0_S2_i.uses_flat_scratch, 0
	.set _Z21shuffle_offset_kernelILj32E12hip_bfloat16EvPT0_S2_i.has_dyn_sized_stack, 0
	.set _Z21shuffle_offset_kernelILj32E12hip_bfloat16EvPT0_S2_i.has_recursion, 0
	.set _Z21shuffle_offset_kernelILj32E12hip_bfloat16EvPT0_S2_i.has_indirect_call, 0
	.section	.AMDGPU.csdata,"",@progbits
; Kernel info:
; codeLenInByte = 140
; TotalNumSgprs: 12
; NumVgprs: 5
; ScratchSize: 0
; MemoryBound: 0
; FloatMode: 240
; IeeeMode: 1
; LDSByteSize: 64 bytes/workgroup (compile time only)
; SGPRBlocks: 1
; VGPRBlocks: 1
; NumSGPRsForWavesPerEU: 12
; NumVGPRsForWavesPerEU: 5
; Occupancy: 10
; WaveLimiterHint : 0
; COMPUTE_PGM_RSRC2:SCRATCH_EN: 0
; COMPUTE_PGM_RSRC2:USER_SGPR: 6
; COMPUTE_PGM_RSRC2:TRAP_HANDLER: 0
; COMPUTE_PGM_RSRC2:TGID_X_EN: 1
; COMPUTE_PGM_RSRC2:TGID_Y_EN: 0
; COMPUTE_PGM_RSRC2:TGID_Z_EN: 0
; COMPUTE_PGM_RSRC2:TIDIG_COMP_CNT: 0
	.section	.text._Z21shuffle_offset_kernelILj32E6__halfEvPT0_S2_i,"axG",@progbits,_Z21shuffle_offset_kernelILj32E6__halfEvPT0_S2_i,comdat
	.protected	_Z21shuffle_offset_kernelILj32E6__halfEvPT0_S2_i ; -- Begin function _Z21shuffle_offset_kernelILj32E6__halfEvPT0_S2_i
	.globl	_Z21shuffle_offset_kernelILj32E6__halfEvPT0_S2_i
	.p2align	8
	.type	_Z21shuffle_offset_kernelILj32E6__halfEvPT0_S2_i,@function
_Z21shuffle_offset_kernelILj32E6__halfEvPT0_S2_i: ; @_Z21shuffle_offset_kernelILj32E6__halfEvPT0_S2_i
; %bb.0:
	s_load_dwordx4 s[0:3], s[4:5], 0x0
	s_load_dword s7, s[4:5], 0x10
	v_lshl_or_b32 v1, s6, 5, v0
	v_mov_b32_e32 v2, 0
	v_lshlrev_b64 v[1:2], 1, v[1:2]
	s_waitcnt lgkmcnt(0)
	v_mov_b32_e32 v4, s1
	v_add_co_u32_e32 v3, vcc, s0, v1
	v_addc_co_u32_e32 v4, vcc, v4, v2, vcc
	global_load_ushort v4, v[3:4], off
	v_lshlrev_b32_e32 v3, 1, v0
	v_add_u32_e32 v0, s7, v0
	v_cmp_gt_u32_e32 vcc, 32, v0
	s_waitcnt vmcnt(0)
	ds_write_b16 v3, v4
	s_waitcnt lgkmcnt(0)
	; wave barrier
	s_and_saveexec_b64 s[0:1], vcc
	s_cbranch_execz .LBB1_2
; %bb.1:
	v_lshl_add_u32 v0, s7, 1, v3
	ds_read_u16 v4, v0
	v_mov_b32_e32 v3, s3
	v_add_co_u32_e32 v0, vcc, s2, v1
	v_addc_co_u32_e32 v1, vcc, v3, v2, vcc
	s_waitcnt lgkmcnt(0)
	global_store_short v[0:1], v4, off
.LBB1_2:
	s_endpgm
	.section	.rodata,"a",@progbits
	.p2align	6, 0x0
	.amdhsa_kernel _Z21shuffle_offset_kernelILj32E6__halfEvPT0_S2_i
		.amdhsa_group_segment_fixed_size 64
		.amdhsa_private_segment_fixed_size 0
		.amdhsa_kernarg_size 20
		.amdhsa_user_sgpr_count 6
		.amdhsa_user_sgpr_private_segment_buffer 1
		.amdhsa_user_sgpr_dispatch_ptr 0
		.amdhsa_user_sgpr_queue_ptr 0
		.amdhsa_user_sgpr_kernarg_segment_ptr 1
		.amdhsa_user_sgpr_dispatch_id 0
		.amdhsa_user_sgpr_flat_scratch_init 0
		.amdhsa_user_sgpr_private_segment_size 0
		.amdhsa_uses_dynamic_stack 0
		.amdhsa_system_sgpr_private_segment_wavefront_offset 0
		.amdhsa_system_sgpr_workgroup_id_x 1
		.amdhsa_system_sgpr_workgroup_id_y 0
		.amdhsa_system_sgpr_workgroup_id_z 0
		.amdhsa_system_sgpr_workgroup_info 0
		.amdhsa_system_vgpr_workitem_id 0
		.amdhsa_next_free_vgpr 5
		.amdhsa_next_free_sgpr 8
		.amdhsa_reserve_vcc 1
		.amdhsa_reserve_flat_scratch 0
		.amdhsa_float_round_mode_32 0
		.amdhsa_float_round_mode_16_64 0
		.amdhsa_float_denorm_mode_32 3
		.amdhsa_float_denorm_mode_16_64 3
		.amdhsa_dx10_clamp 1
		.amdhsa_ieee_mode 1
		.amdhsa_fp16_overflow 0
		.amdhsa_exception_fp_ieee_invalid_op 0
		.amdhsa_exception_fp_denorm_src 0
		.amdhsa_exception_fp_ieee_div_zero 0
		.amdhsa_exception_fp_ieee_overflow 0
		.amdhsa_exception_fp_ieee_underflow 0
		.amdhsa_exception_fp_ieee_inexact 0
		.amdhsa_exception_int_div_zero 0
	.end_amdhsa_kernel
	.section	.text._Z21shuffle_offset_kernelILj32E6__halfEvPT0_S2_i,"axG",@progbits,_Z21shuffle_offset_kernelILj32E6__halfEvPT0_S2_i,comdat
.Lfunc_end1:
	.size	_Z21shuffle_offset_kernelILj32E6__halfEvPT0_S2_i, .Lfunc_end1-_Z21shuffle_offset_kernelILj32E6__halfEvPT0_S2_i
                                        ; -- End function
	.set _Z21shuffle_offset_kernelILj32E6__halfEvPT0_S2_i.num_vgpr, 5
	.set _Z21shuffle_offset_kernelILj32E6__halfEvPT0_S2_i.num_agpr, 0
	.set _Z21shuffle_offset_kernelILj32E6__halfEvPT0_S2_i.numbered_sgpr, 8
	.set _Z21shuffle_offset_kernelILj32E6__halfEvPT0_S2_i.num_named_barrier, 0
	.set _Z21shuffle_offset_kernelILj32E6__halfEvPT0_S2_i.private_seg_size, 0
	.set _Z21shuffle_offset_kernelILj32E6__halfEvPT0_S2_i.uses_vcc, 1
	.set _Z21shuffle_offset_kernelILj32E6__halfEvPT0_S2_i.uses_flat_scratch, 0
	.set _Z21shuffle_offset_kernelILj32E6__halfEvPT0_S2_i.has_dyn_sized_stack, 0
	.set _Z21shuffle_offset_kernelILj32E6__halfEvPT0_S2_i.has_recursion, 0
	.set _Z21shuffle_offset_kernelILj32E6__halfEvPT0_S2_i.has_indirect_call, 0
	.section	.AMDGPU.csdata,"",@progbits
; Kernel info:
; codeLenInByte = 140
; TotalNumSgprs: 12
; NumVgprs: 5
; ScratchSize: 0
; MemoryBound: 0
; FloatMode: 240
; IeeeMode: 1
; LDSByteSize: 64 bytes/workgroup (compile time only)
; SGPRBlocks: 1
; VGPRBlocks: 1
; NumSGPRsForWavesPerEU: 12
; NumVGPRsForWavesPerEU: 5
; Occupancy: 10
; WaveLimiterHint : 0
; COMPUTE_PGM_RSRC2:SCRATCH_EN: 0
; COMPUTE_PGM_RSRC2:USER_SGPR: 6
; COMPUTE_PGM_RSRC2:TRAP_HANDLER: 0
; COMPUTE_PGM_RSRC2:TGID_X_EN: 1
; COMPUTE_PGM_RSRC2:TGID_Y_EN: 0
; COMPUTE_PGM_RSRC2:TGID_Z_EN: 0
; COMPUTE_PGM_RSRC2:TIDIG_COMP_CNT: 0
	.section	.text._Z21shuffle_offset_kernelILj32EfEvPT0_S1_i,"axG",@progbits,_Z21shuffle_offset_kernelILj32EfEvPT0_S1_i,comdat
	.protected	_Z21shuffle_offset_kernelILj32EfEvPT0_S1_i ; -- Begin function _Z21shuffle_offset_kernelILj32EfEvPT0_S1_i
	.globl	_Z21shuffle_offset_kernelILj32EfEvPT0_S1_i
	.p2align	8
	.type	_Z21shuffle_offset_kernelILj32EfEvPT0_S1_i,@function
_Z21shuffle_offset_kernelILj32EfEvPT0_S1_i: ; @_Z21shuffle_offset_kernelILj32EfEvPT0_S1_i
; %bb.0:
	s_load_dwordx4 s[0:3], s[4:5], 0x0
	s_load_dword s7, s[4:5], 0x10
	v_lshl_or_b32 v1, s6, 5, v0
	v_mov_b32_e32 v2, 0
	v_lshlrev_b64 v[1:2], 2, v[1:2]
	s_waitcnt lgkmcnt(0)
	v_mov_b32_e32 v4, s1
	v_add_co_u32_e32 v3, vcc, s0, v1
	v_addc_co_u32_e32 v4, vcc, v4, v2, vcc
	global_load_dword v4, v[3:4], off
	v_lshlrev_b32_e32 v3, 2, v0
	v_add_u32_e32 v0, s7, v0
	v_cmp_gt_u32_e32 vcc, 32, v0
	s_waitcnt vmcnt(0)
	ds_write_b32 v3, v4
	s_waitcnt lgkmcnt(0)
	; wave barrier
	s_and_saveexec_b64 s[0:1], vcc
	s_cbranch_execz .LBB2_2
; %bb.1:
	v_lshl_add_u32 v0, s7, 2, v3
	ds_read_b32 v4, v0
	v_mov_b32_e32 v3, s3
	v_add_co_u32_e32 v0, vcc, s2, v1
	v_addc_co_u32_e32 v1, vcc, v3, v2, vcc
	s_waitcnt lgkmcnt(0)
	global_store_dword v[0:1], v4, off
.LBB2_2:
	s_endpgm
	.section	.rodata,"a",@progbits
	.p2align	6, 0x0
	.amdhsa_kernel _Z21shuffle_offset_kernelILj32EfEvPT0_S1_i
		.amdhsa_group_segment_fixed_size 128
		.amdhsa_private_segment_fixed_size 0
		.amdhsa_kernarg_size 20
		.amdhsa_user_sgpr_count 6
		.amdhsa_user_sgpr_private_segment_buffer 1
		.amdhsa_user_sgpr_dispatch_ptr 0
		.amdhsa_user_sgpr_queue_ptr 0
		.amdhsa_user_sgpr_kernarg_segment_ptr 1
		.amdhsa_user_sgpr_dispatch_id 0
		.amdhsa_user_sgpr_flat_scratch_init 0
		.amdhsa_user_sgpr_private_segment_size 0
		.amdhsa_uses_dynamic_stack 0
		.amdhsa_system_sgpr_private_segment_wavefront_offset 0
		.amdhsa_system_sgpr_workgroup_id_x 1
		.amdhsa_system_sgpr_workgroup_id_y 0
		.amdhsa_system_sgpr_workgroup_id_z 0
		.amdhsa_system_sgpr_workgroup_info 0
		.amdhsa_system_vgpr_workitem_id 0
		.amdhsa_next_free_vgpr 5
		.amdhsa_next_free_sgpr 8
		.amdhsa_reserve_vcc 1
		.amdhsa_reserve_flat_scratch 0
		.amdhsa_float_round_mode_32 0
		.amdhsa_float_round_mode_16_64 0
		.amdhsa_float_denorm_mode_32 3
		.amdhsa_float_denorm_mode_16_64 3
		.amdhsa_dx10_clamp 1
		.amdhsa_ieee_mode 1
		.amdhsa_fp16_overflow 0
		.amdhsa_exception_fp_ieee_invalid_op 0
		.amdhsa_exception_fp_denorm_src 0
		.amdhsa_exception_fp_ieee_div_zero 0
		.amdhsa_exception_fp_ieee_overflow 0
		.amdhsa_exception_fp_ieee_underflow 0
		.amdhsa_exception_fp_ieee_inexact 0
		.amdhsa_exception_int_div_zero 0
	.end_amdhsa_kernel
	.section	.text._Z21shuffle_offset_kernelILj32EfEvPT0_S1_i,"axG",@progbits,_Z21shuffle_offset_kernelILj32EfEvPT0_S1_i,comdat
.Lfunc_end2:
	.size	_Z21shuffle_offset_kernelILj32EfEvPT0_S1_i, .Lfunc_end2-_Z21shuffle_offset_kernelILj32EfEvPT0_S1_i
                                        ; -- End function
	.set _Z21shuffle_offset_kernelILj32EfEvPT0_S1_i.num_vgpr, 5
	.set _Z21shuffle_offset_kernelILj32EfEvPT0_S1_i.num_agpr, 0
	.set _Z21shuffle_offset_kernelILj32EfEvPT0_S1_i.numbered_sgpr, 8
	.set _Z21shuffle_offset_kernelILj32EfEvPT0_S1_i.num_named_barrier, 0
	.set _Z21shuffle_offset_kernelILj32EfEvPT0_S1_i.private_seg_size, 0
	.set _Z21shuffle_offset_kernelILj32EfEvPT0_S1_i.uses_vcc, 1
	.set _Z21shuffle_offset_kernelILj32EfEvPT0_S1_i.uses_flat_scratch, 0
	.set _Z21shuffle_offset_kernelILj32EfEvPT0_S1_i.has_dyn_sized_stack, 0
	.set _Z21shuffle_offset_kernelILj32EfEvPT0_S1_i.has_recursion, 0
	.set _Z21shuffle_offset_kernelILj32EfEvPT0_S1_i.has_indirect_call, 0
	.section	.AMDGPU.csdata,"",@progbits
; Kernel info:
; codeLenInByte = 140
; TotalNumSgprs: 12
; NumVgprs: 5
; ScratchSize: 0
; MemoryBound: 0
; FloatMode: 240
; IeeeMode: 1
; LDSByteSize: 128 bytes/workgroup (compile time only)
; SGPRBlocks: 1
; VGPRBlocks: 1
; NumSGPRsForWavesPerEU: 12
; NumVGPRsForWavesPerEU: 5
; Occupancy: 10
; WaveLimiterHint : 0
; COMPUTE_PGM_RSRC2:SCRATCH_EN: 0
; COMPUTE_PGM_RSRC2:USER_SGPR: 6
; COMPUTE_PGM_RSRC2:TRAP_HANDLER: 0
; COMPUTE_PGM_RSRC2:TGID_X_EN: 1
; COMPUTE_PGM_RSRC2:TGID_Y_EN: 0
; COMPUTE_PGM_RSRC2:TGID_Z_EN: 0
; COMPUTE_PGM_RSRC2:TIDIG_COMP_CNT: 0
	.section	.text._Z21shuffle_offset_kernelILj377ElEvPT0_S1_i,"axG",@progbits,_Z21shuffle_offset_kernelILj377ElEvPT0_S1_i,comdat
	.protected	_Z21shuffle_offset_kernelILj377ElEvPT0_S1_i ; -- Begin function _Z21shuffle_offset_kernelILj377ElEvPT0_S1_i
	.globl	_Z21shuffle_offset_kernelILj377ElEvPT0_S1_i
	.p2align	8
	.type	_Z21shuffle_offset_kernelILj377ElEvPT0_S1_i,@function
_Z21shuffle_offset_kernelILj377ElEvPT0_S1_i: ; @_Z21shuffle_offset_kernelILj377ElEvPT0_S1_i
; %bb.0:
	s_load_dwordx4 s[0:3], s[4:5], 0x0
	s_load_dword s7, s[4:5], 0x10
	s_mulk_i32 s6, 0x179
	v_add_u32_e32 v1, s6, v0
	v_mov_b32_e32 v2, 0
	v_lshlrev_b64 v[1:2], 3, v[1:2]
	s_waitcnt lgkmcnt(0)
	v_mov_b32_e32 v4, s1
	v_add_co_u32_e32 v3, vcc, s0, v1
	v_addc_co_u32_e32 v4, vcc, v4, v2, vcc
	global_load_dwordx2 v[4:5], v[3:4], off
	s_movk_i32 s0, 0x179
	v_lshlrev_b32_e32 v3, 3, v0
	v_add_u32_e32 v0, s7, v0
	v_cmp_gt_u32_e32 vcc, s0, v0
	s_waitcnt vmcnt(0)
	ds_write_b64 v3, v[4:5]
	s_waitcnt lgkmcnt(0)
	s_barrier
	s_and_saveexec_b64 s[0:1], vcc
	s_cbranch_execz .LBB3_2
; %bb.1:
	v_lshl_add_u32 v0, s7, 3, v3
	ds_read_b64 v[3:4], v0
	v_mov_b32_e32 v5, s3
	v_add_co_u32_e32 v0, vcc, s2, v1
	v_addc_co_u32_e32 v1, vcc, v5, v2, vcc
	s_waitcnt lgkmcnt(0)
	global_store_dwordx2 v[0:1], v[3:4], off
.LBB3_2:
	s_endpgm
	.section	.rodata,"a",@progbits
	.p2align	6, 0x0
	.amdhsa_kernel _Z21shuffle_offset_kernelILj377ElEvPT0_S1_i
		.amdhsa_group_segment_fixed_size 3016
		.amdhsa_private_segment_fixed_size 0
		.amdhsa_kernarg_size 20
		.amdhsa_user_sgpr_count 6
		.amdhsa_user_sgpr_private_segment_buffer 1
		.amdhsa_user_sgpr_dispatch_ptr 0
		.amdhsa_user_sgpr_queue_ptr 0
		.amdhsa_user_sgpr_kernarg_segment_ptr 1
		.amdhsa_user_sgpr_dispatch_id 0
		.amdhsa_user_sgpr_flat_scratch_init 0
		.amdhsa_user_sgpr_private_segment_size 0
		.amdhsa_uses_dynamic_stack 0
		.amdhsa_system_sgpr_private_segment_wavefront_offset 0
		.amdhsa_system_sgpr_workgroup_id_x 1
		.amdhsa_system_sgpr_workgroup_id_y 0
		.amdhsa_system_sgpr_workgroup_id_z 0
		.amdhsa_system_sgpr_workgroup_info 0
		.amdhsa_system_vgpr_workitem_id 0
		.amdhsa_next_free_vgpr 25
		.amdhsa_next_free_sgpr 61
		.amdhsa_reserve_vcc 1
		.amdhsa_reserve_flat_scratch 0
		.amdhsa_float_round_mode_32 0
		.amdhsa_float_round_mode_16_64 0
		.amdhsa_float_denorm_mode_32 3
		.amdhsa_float_denorm_mode_16_64 3
		.amdhsa_dx10_clamp 1
		.amdhsa_ieee_mode 1
		.amdhsa_fp16_overflow 0
		.amdhsa_exception_fp_ieee_invalid_op 0
		.amdhsa_exception_fp_denorm_src 0
		.amdhsa_exception_fp_ieee_div_zero 0
		.amdhsa_exception_fp_ieee_overflow 0
		.amdhsa_exception_fp_ieee_underflow 0
		.amdhsa_exception_fp_ieee_inexact 0
		.amdhsa_exception_int_div_zero 0
	.end_amdhsa_kernel
	.section	.text._Z21shuffle_offset_kernelILj377ElEvPT0_S1_i,"axG",@progbits,_Z21shuffle_offset_kernelILj377ElEvPT0_S1_i,comdat
.Lfunc_end3:
	.size	_Z21shuffle_offset_kernelILj377ElEvPT0_S1_i, .Lfunc_end3-_Z21shuffle_offset_kernelILj377ElEvPT0_S1_i
                                        ; -- End function
	.set _Z21shuffle_offset_kernelILj377ElEvPT0_S1_i.num_vgpr, 6
	.set _Z21shuffle_offset_kernelILj377ElEvPT0_S1_i.num_agpr, 0
	.set _Z21shuffle_offset_kernelILj377ElEvPT0_S1_i.numbered_sgpr, 8
	.set _Z21shuffle_offset_kernelILj377ElEvPT0_S1_i.num_named_barrier, 0
	.set _Z21shuffle_offset_kernelILj377ElEvPT0_S1_i.private_seg_size, 0
	.set _Z21shuffle_offset_kernelILj377ElEvPT0_S1_i.uses_vcc, 1
	.set _Z21shuffle_offset_kernelILj377ElEvPT0_S1_i.uses_flat_scratch, 0
	.set _Z21shuffle_offset_kernelILj377ElEvPT0_S1_i.has_dyn_sized_stack, 0
	.set _Z21shuffle_offset_kernelILj377ElEvPT0_S1_i.has_recursion, 0
	.set _Z21shuffle_offset_kernelILj377ElEvPT0_S1_i.has_indirect_call, 0
	.section	.AMDGPU.csdata,"",@progbits
; Kernel info:
; codeLenInByte = 148
; TotalNumSgprs: 12
; NumVgprs: 6
; ScratchSize: 0
; MemoryBound: 0
; FloatMode: 240
; IeeeMode: 1
; LDSByteSize: 3016 bytes/workgroup (compile time only)
; SGPRBlocks: 8
; VGPRBlocks: 6
; NumSGPRsForWavesPerEU: 65
; NumVGPRsForWavesPerEU: 25
; Occupancy: 9
; WaveLimiterHint : 0
; COMPUTE_PGM_RSRC2:SCRATCH_EN: 0
; COMPUTE_PGM_RSRC2:USER_SGPR: 6
; COMPUTE_PGM_RSRC2:TRAP_HANDLER: 0
; COMPUTE_PGM_RSRC2:TGID_X_EN: 1
; COMPUTE_PGM_RSRC2:TGID_Y_EN: 0
; COMPUTE_PGM_RSRC2:TGID_Z_EN: 0
; COMPUTE_PGM_RSRC2:TIDIG_COMP_CNT: 0
	.section	.text._Z21shuffle_offset_kernelILj256ElEvPT0_S1_i,"axG",@progbits,_Z21shuffle_offset_kernelILj256ElEvPT0_S1_i,comdat
	.protected	_Z21shuffle_offset_kernelILj256ElEvPT0_S1_i ; -- Begin function _Z21shuffle_offset_kernelILj256ElEvPT0_S1_i
	.globl	_Z21shuffle_offset_kernelILj256ElEvPT0_S1_i
	.p2align	8
	.type	_Z21shuffle_offset_kernelILj256ElEvPT0_S1_i,@function
_Z21shuffle_offset_kernelILj256ElEvPT0_S1_i: ; @_Z21shuffle_offset_kernelILj256ElEvPT0_S1_i
; %bb.0:
	s_load_dwordx4 s[0:3], s[4:5], 0x0
	s_load_dword s7, s[4:5], 0x10
	v_lshl_or_b32 v1, s6, 8, v0
	v_mov_b32_e32 v2, 0
	v_lshlrev_b64 v[1:2], 3, v[1:2]
	s_waitcnt lgkmcnt(0)
	v_mov_b32_e32 v4, s1
	v_add_co_u32_e32 v3, vcc, s0, v1
	v_addc_co_u32_e32 v4, vcc, v4, v2, vcc
	global_load_dwordx2 v[4:5], v[3:4], off
	s_movk_i32 s0, 0x100
	v_lshlrev_b32_e32 v3, 3, v0
	v_add_u32_e32 v0, s7, v0
	v_cmp_gt_u32_e32 vcc, s0, v0
	s_waitcnt vmcnt(0)
	ds_write_b64 v3, v[4:5]
	s_waitcnt lgkmcnt(0)
	s_barrier
	s_and_saveexec_b64 s[0:1], vcc
	s_cbranch_execz .LBB4_2
; %bb.1:
	v_lshl_add_u32 v0, s7, 3, v3
	ds_read_b64 v[3:4], v0
	v_mov_b32_e32 v5, s3
	v_add_co_u32_e32 v0, vcc, s2, v1
	v_addc_co_u32_e32 v1, vcc, v5, v2, vcc
	s_waitcnt lgkmcnt(0)
	global_store_dwordx2 v[0:1], v[3:4], off
.LBB4_2:
	s_endpgm
	.section	.rodata,"a",@progbits
	.p2align	6, 0x0
	.amdhsa_kernel _Z21shuffle_offset_kernelILj256ElEvPT0_S1_i
		.amdhsa_group_segment_fixed_size 2048
		.amdhsa_private_segment_fixed_size 0
		.amdhsa_kernarg_size 20
		.amdhsa_user_sgpr_count 6
		.amdhsa_user_sgpr_private_segment_buffer 1
		.amdhsa_user_sgpr_dispatch_ptr 0
		.amdhsa_user_sgpr_queue_ptr 0
		.amdhsa_user_sgpr_kernarg_segment_ptr 1
		.amdhsa_user_sgpr_dispatch_id 0
		.amdhsa_user_sgpr_flat_scratch_init 0
		.amdhsa_user_sgpr_private_segment_size 0
		.amdhsa_uses_dynamic_stack 0
		.amdhsa_system_sgpr_private_segment_wavefront_offset 0
		.amdhsa_system_sgpr_workgroup_id_x 1
		.amdhsa_system_sgpr_workgroup_id_y 0
		.amdhsa_system_sgpr_workgroup_id_z 0
		.amdhsa_system_sgpr_workgroup_info 0
		.amdhsa_system_vgpr_workitem_id 0
		.amdhsa_next_free_vgpr 6
		.amdhsa_next_free_sgpr 8
		.amdhsa_reserve_vcc 1
		.amdhsa_reserve_flat_scratch 0
		.amdhsa_float_round_mode_32 0
		.amdhsa_float_round_mode_16_64 0
		.amdhsa_float_denorm_mode_32 3
		.amdhsa_float_denorm_mode_16_64 3
		.amdhsa_dx10_clamp 1
		.amdhsa_ieee_mode 1
		.amdhsa_fp16_overflow 0
		.amdhsa_exception_fp_ieee_invalid_op 0
		.amdhsa_exception_fp_denorm_src 0
		.amdhsa_exception_fp_ieee_div_zero 0
		.amdhsa_exception_fp_ieee_overflow 0
		.amdhsa_exception_fp_ieee_underflow 0
		.amdhsa_exception_fp_ieee_inexact 0
		.amdhsa_exception_int_div_zero 0
	.end_amdhsa_kernel
	.section	.text._Z21shuffle_offset_kernelILj256ElEvPT0_S1_i,"axG",@progbits,_Z21shuffle_offset_kernelILj256ElEvPT0_S1_i,comdat
.Lfunc_end4:
	.size	_Z21shuffle_offset_kernelILj256ElEvPT0_S1_i, .Lfunc_end4-_Z21shuffle_offset_kernelILj256ElEvPT0_S1_i
                                        ; -- End function
	.set _Z21shuffle_offset_kernelILj256ElEvPT0_S1_i.num_vgpr, 6
	.set _Z21shuffle_offset_kernelILj256ElEvPT0_S1_i.num_agpr, 0
	.set _Z21shuffle_offset_kernelILj256ElEvPT0_S1_i.numbered_sgpr, 8
	.set _Z21shuffle_offset_kernelILj256ElEvPT0_S1_i.num_named_barrier, 0
	.set _Z21shuffle_offset_kernelILj256ElEvPT0_S1_i.private_seg_size, 0
	.set _Z21shuffle_offset_kernelILj256ElEvPT0_S1_i.uses_vcc, 1
	.set _Z21shuffle_offset_kernelILj256ElEvPT0_S1_i.uses_flat_scratch, 0
	.set _Z21shuffle_offset_kernelILj256ElEvPT0_S1_i.has_dyn_sized_stack, 0
	.set _Z21shuffle_offset_kernelILj256ElEvPT0_S1_i.has_recursion, 0
	.set _Z21shuffle_offset_kernelILj256ElEvPT0_S1_i.has_indirect_call, 0
	.section	.AMDGPU.csdata,"",@progbits
; Kernel info:
; codeLenInByte = 148
; TotalNumSgprs: 12
; NumVgprs: 6
; ScratchSize: 0
; MemoryBound: 0
; FloatMode: 240
; IeeeMode: 1
; LDSByteSize: 2048 bytes/workgroup (compile time only)
; SGPRBlocks: 1
; VGPRBlocks: 1
; NumSGPRsForWavesPerEU: 12
; NumVGPRsForWavesPerEU: 6
; Occupancy: 10
; WaveLimiterHint : 0
; COMPUTE_PGM_RSRC2:SCRATCH_EN: 0
; COMPUTE_PGM_RSRC2:USER_SGPR: 6
; COMPUTE_PGM_RSRC2:TRAP_HANDLER: 0
; COMPUTE_PGM_RSRC2:TGID_X_EN: 1
; COMPUTE_PGM_RSRC2:TGID_Y_EN: 0
; COMPUTE_PGM_RSRC2:TGID_Z_EN: 0
; COMPUTE_PGM_RSRC2:TIDIG_COMP_CNT: 0
	.section	.text._Z21shuffle_offset_kernelILj64ElEvPT0_S1_i,"axG",@progbits,_Z21shuffle_offset_kernelILj64ElEvPT0_S1_i,comdat
	.protected	_Z21shuffle_offset_kernelILj64ElEvPT0_S1_i ; -- Begin function _Z21shuffle_offset_kernelILj64ElEvPT0_S1_i
	.globl	_Z21shuffle_offset_kernelILj64ElEvPT0_S1_i
	.p2align	8
	.type	_Z21shuffle_offset_kernelILj64ElEvPT0_S1_i,@function
_Z21shuffle_offset_kernelILj64ElEvPT0_S1_i: ; @_Z21shuffle_offset_kernelILj64ElEvPT0_S1_i
; %bb.0:
	s_load_dwordx4 s[0:3], s[4:5], 0x0
	s_load_dword s7, s[4:5], 0x10
	v_lshl_or_b32 v1, s6, 6, v0
	v_mov_b32_e32 v2, 0
	v_lshlrev_b64 v[1:2], 3, v[1:2]
	s_waitcnt lgkmcnt(0)
	v_mov_b32_e32 v4, s1
	v_add_co_u32_e32 v3, vcc, s0, v1
	v_addc_co_u32_e32 v4, vcc, v4, v2, vcc
	global_load_dwordx2 v[4:5], v[3:4], off
	v_lshlrev_b32_e32 v3, 3, v0
	v_add_u32_e32 v0, s7, v0
	v_cmp_gt_u32_e32 vcc, 64, v0
	s_waitcnt vmcnt(0)
	ds_write_b64 v3, v[4:5]
	s_waitcnt lgkmcnt(0)
	; wave barrier
	s_and_saveexec_b64 s[0:1], vcc
	s_cbranch_execz .LBB5_2
; %bb.1:
	v_lshl_add_u32 v0, s7, 3, v3
	ds_read_b64 v[3:4], v0
	v_mov_b32_e32 v5, s3
	v_add_co_u32_e32 v0, vcc, s2, v1
	v_addc_co_u32_e32 v1, vcc, v5, v2, vcc
	s_waitcnt lgkmcnt(0)
	global_store_dwordx2 v[0:1], v[3:4], off
.LBB5_2:
	s_endpgm
	.section	.rodata,"a",@progbits
	.p2align	6, 0x0
	.amdhsa_kernel _Z21shuffle_offset_kernelILj64ElEvPT0_S1_i
		.amdhsa_group_segment_fixed_size 512
		.amdhsa_private_segment_fixed_size 0
		.amdhsa_kernarg_size 20
		.amdhsa_user_sgpr_count 6
		.amdhsa_user_sgpr_private_segment_buffer 1
		.amdhsa_user_sgpr_dispatch_ptr 0
		.amdhsa_user_sgpr_queue_ptr 0
		.amdhsa_user_sgpr_kernarg_segment_ptr 1
		.amdhsa_user_sgpr_dispatch_id 0
		.amdhsa_user_sgpr_flat_scratch_init 0
		.amdhsa_user_sgpr_private_segment_size 0
		.amdhsa_uses_dynamic_stack 0
		.amdhsa_system_sgpr_private_segment_wavefront_offset 0
		.amdhsa_system_sgpr_workgroup_id_x 1
		.amdhsa_system_sgpr_workgroup_id_y 0
		.amdhsa_system_sgpr_workgroup_id_z 0
		.amdhsa_system_sgpr_workgroup_info 0
		.amdhsa_system_vgpr_workitem_id 0
		.amdhsa_next_free_vgpr 6
		.amdhsa_next_free_sgpr 8
		.amdhsa_reserve_vcc 1
		.amdhsa_reserve_flat_scratch 0
		.amdhsa_float_round_mode_32 0
		.amdhsa_float_round_mode_16_64 0
		.amdhsa_float_denorm_mode_32 3
		.amdhsa_float_denorm_mode_16_64 3
		.amdhsa_dx10_clamp 1
		.amdhsa_ieee_mode 1
		.amdhsa_fp16_overflow 0
		.amdhsa_exception_fp_ieee_invalid_op 0
		.amdhsa_exception_fp_denorm_src 0
		.amdhsa_exception_fp_ieee_div_zero 0
		.amdhsa_exception_fp_ieee_overflow 0
		.amdhsa_exception_fp_ieee_underflow 0
		.amdhsa_exception_fp_ieee_inexact 0
		.amdhsa_exception_int_div_zero 0
	.end_amdhsa_kernel
	.section	.text._Z21shuffle_offset_kernelILj64ElEvPT0_S1_i,"axG",@progbits,_Z21shuffle_offset_kernelILj64ElEvPT0_S1_i,comdat
.Lfunc_end5:
	.size	_Z21shuffle_offset_kernelILj64ElEvPT0_S1_i, .Lfunc_end5-_Z21shuffle_offset_kernelILj64ElEvPT0_S1_i
                                        ; -- End function
	.set _Z21shuffle_offset_kernelILj64ElEvPT0_S1_i.num_vgpr, 6
	.set _Z21shuffle_offset_kernelILj64ElEvPT0_S1_i.num_agpr, 0
	.set _Z21shuffle_offset_kernelILj64ElEvPT0_S1_i.numbered_sgpr, 8
	.set _Z21shuffle_offset_kernelILj64ElEvPT0_S1_i.num_named_barrier, 0
	.set _Z21shuffle_offset_kernelILj64ElEvPT0_S1_i.private_seg_size, 0
	.set _Z21shuffle_offset_kernelILj64ElEvPT0_S1_i.uses_vcc, 1
	.set _Z21shuffle_offset_kernelILj64ElEvPT0_S1_i.uses_flat_scratch, 0
	.set _Z21shuffle_offset_kernelILj64ElEvPT0_S1_i.has_dyn_sized_stack, 0
	.set _Z21shuffle_offset_kernelILj64ElEvPT0_S1_i.has_recursion, 0
	.set _Z21shuffle_offset_kernelILj64ElEvPT0_S1_i.has_indirect_call, 0
	.section	.AMDGPU.csdata,"",@progbits
; Kernel info:
; codeLenInByte = 140
; TotalNumSgprs: 12
; NumVgprs: 6
; ScratchSize: 0
; MemoryBound: 0
; FloatMode: 240
; IeeeMode: 1
; LDSByteSize: 512 bytes/workgroup (compile time only)
; SGPRBlocks: 1
; VGPRBlocks: 1
; NumSGPRsForWavesPerEU: 12
; NumVGPRsForWavesPerEU: 6
; Occupancy: 10
; WaveLimiterHint : 0
; COMPUTE_PGM_RSRC2:SCRATCH_EN: 0
; COMPUTE_PGM_RSRC2:USER_SGPR: 6
; COMPUTE_PGM_RSRC2:TRAP_HANDLER: 0
; COMPUTE_PGM_RSRC2:TGID_X_EN: 1
; COMPUTE_PGM_RSRC2:TGID_Y_EN: 0
; COMPUTE_PGM_RSRC2:TGID_Z_EN: 0
; COMPUTE_PGM_RSRC2:TIDIG_COMP_CNT: 0
	.section	.text._Z21shuffle_offset_kernelILj377EjEvPT0_S1_i,"axG",@progbits,_Z21shuffle_offset_kernelILj377EjEvPT0_S1_i,comdat
	.protected	_Z21shuffle_offset_kernelILj377EjEvPT0_S1_i ; -- Begin function _Z21shuffle_offset_kernelILj377EjEvPT0_S1_i
	.globl	_Z21shuffle_offset_kernelILj377EjEvPT0_S1_i
	.p2align	8
	.type	_Z21shuffle_offset_kernelILj377EjEvPT0_S1_i,@function
_Z21shuffle_offset_kernelILj377EjEvPT0_S1_i: ; @_Z21shuffle_offset_kernelILj377EjEvPT0_S1_i
; %bb.0:
	s_load_dwordx4 s[0:3], s[4:5], 0x0
	s_load_dword s7, s[4:5], 0x10
	s_mulk_i32 s6, 0x179
	v_add_u32_e32 v1, s6, v0
	v_mov_b32_e32 v2, 0
	v_lshlrev_b64 v[1:2], 2, v[1:2]
	s_waitcnt lgkmcnt(0)
	v_mov_b32_e32 v4, s1
	v_add_co_u32_e32 v3, vcc, s0, v1
	v_addc_co_u32_e32 v4, vcc, v4, v2, vcc
	global_load_dword v4, v[3:4], off
	s_movk_i32 s0, 0x179
	v_lshlrev_b32_e32 v3, 2, v0
	v_add_u32_e32 v0, s7, v0
	v_cmp_gt_u32_e32 vcc, s0, v0
	s_waitcnt vmcnt(0)
	ds_write_b32 v3, v4
	s_waitcnt lgkmcnt(0)
	s_barrier
	s_and_saveexec_b64 s[0:1], vcc
	s_cbranch_execz .LBB6_2
; %bb.1:
	v_lshl_add_u32 v0, s7, 2, v3
	ds_read_b32 v4, v0
	v_mov_b32_e32 v3, s3
	v_add_co_u32_e32 v0, vcc, s2, v1
	v_addc_co_u32_e32 v1, vcc, v3, v2, vcc
	s_waitcnt lgkmcnt(0)
	global_store_dword v[0:1], v4, off
.LBB6_2:
	s_endpgm
	.section	.rodata,"a",@progbits
	.p2align	6, 0x0
	.amdhsa_kernel _Z21shuffle_offset_kernelILj377EjEvPT0_S1_i
		.amdhsa_group_segment_fixed_size 1508
		.amdhsa_private_segment_fixed_size 0
		.amdhsa_kernarg_size 20
		.amdhsa_user_sgpr_count 6
		.amdhsa_user_sgpr_private_segment_buffer 1
		.amdhsa_user_sgpr_dispatch_ptr 0
		.amdhsa_user_sgpr_queue_ptr 0
		.amdhsa_user_sgpr_kernarg_segment_ptr 1
		.amdhsa_user_sgpr_dispatch_id 0
		.amdhsa_user_sgpr_flat_scratch_init 0
		.amdhsa_user_sgpr_private_segment_size 0
		.amdhsa_uses_dynamic_stack 0
		.amdhsa_system_sgpr_private_segment_wavefront_offset 0
		.amdhsa_system_sgpr_workgroup_id_x 1
		.amdhsa_system_sgpr_workgroup_id_y 0
		.amdhsa_system_sgpr_workgroup_id_z 0
		.amdhsa_system_sgpr_workgroup_info 0
		.amdhsa_system_vgpr_workitem_id 0
		.amdhsa_next_free_vgpr 5
		.amdhsa_next_free_sgpr 8
		.amdhsa_reserve_vcc 1
		.amdhsa_reserve_flat_scratch 0
		.amdhsa_float_round_mode_32 0
		.amdhsa_float_round_mode_16_64 0
		.amdhsa_float_denorm_mode_32 3
		.amdhsa_float_denorm_mode_16_64 3
		.amdhsa_dx10_clamp 1
		.amdhsa_ieee_mode 1
		.amdhsa_fp16_overflow 0
		.amdhsa_exception_fp_ieee_invalid_op 0
		.amdhsa_exception_fp_denorm_src 0
		.amdhsa_exception_fp_ieee_div_zero 0
		.amdhsa_exception_fp_ieee_overflow 0
		.amdhsa_exception_fp_ieee_underflow 0
		.amdhsa_exception_fp_ieee_inexact 0
		.amdhsa_exception_int_div_zero 0
	.end_amdhsa_kernel
	.section	.text._Z21shuffle_offset_kernelILj377EjEvPT0_S1_i,"axG",@progbits,_Z21shuffle_offset_kernelILj377EjEvPT0_S1_i,comdat
.Lfunc_end6:
	.size	_Z21shuffle_offset_kernelILj377EjEvPT0_S1_i, .Lfunc_end6-_Z21shuffle_offset_kernelILj377EjEvPT0_S1_i
                                        ; -- End function
	.set _Z21shuffle_offset_kernelILj377EjEvPT0_S1_i.num_vgpr, 5
	.set _Z21shuffle_offset_kernelILj377EjEvPT0_S1_i.num_agpr, 0
	.set _Z21shuffle_offset_kernelILj377EjEvPT0_S1_i.numbered_sgpr, 8
	.set _Z21shuffle_offset_kernelILj377EjEvPT0_S1_i.num_named_barrier, 0
	.set _Z21shuffle_offset_kernelILj377EjEvPT0_S1_i.private_seg_size, 0
	.set _Z21shuffle_offset_kernelILj377EjEvPT0_S1_i.uses_vcc, 1
	.set _Z21shuffle_offset_kernelILj377EjEvPT0_S1_i.uses_flat_scratch, 0
	.set _Z21shuffle_offset_kernelILj377EjEvPT0_S1_i.has_dyn_sized_stack, 0
	.set _Z21shuffle_offset_kernelILj377EjEvPT0_S1_i.has_recursion, 0
	.set _Z21shuffle_offset_kernelILj377EjEvPT0_S1_i.has_indirect_call, 0
	.section	.AMDGPU.csdata,"",@progbits
; Kernel info:
; codeLenInByte = 148
; TotalNumSgprs: 12
; NumVgprs: 5
; ScratchSize: 0
; MemoryBound: 0
; FloatMode: 240
; IeeeMode: 1
; LDSByteSize: 1508 bytes/workgroup (compile time only)
; SGPRBlocks: 1
; VGPRBlocks: 1
; NumSGPRsForWavesPerEU: 12
; NumVGPRsForWavesPerEU: 5
; Occupancy: 10
; WaveLimiterHint : 0
; COMPUTE_PGM_RSRC2:SCRATCH_EN: 0
; COMPUTE_PGM_RSRC2:USER_SGPR: 6
; COMPUTE_PGM_RSRC2:TRAP_HANDLER: 0
; COMPUTE_PGM_RSRC2:TGID_X_EN: 1
; COMPUTE_PGM_RSRC2:TGID_Y_EN: 0
; COMPUTE_PGM_RSRC2:TGID_Z_EN: 0
; COMPUTE_PGM_RSRC2:TIDIG_COMP_CNT: 0
	.section	.text._Z21shuffle_offset_kernelILj256EjEvPT0_S1_i,"axG",@progbits,_Z21shuffle_offset_kernelILj256EjEvPT0_S1_i,comdat
	.protected	_Z21shuffle_offset_kernelILj256EjEvPT0_S1_i ; -- Begin function _Z21shuffle_offset_kernelILj256EjEvPT0_S1_i
	.globl	_Z21shuffle_offset_kernelILj256EjEvPT0_S1_i
	.p2align	8
	.type	_Z21shuffle_offset_kernelILj256EjEvPT0_S1_i,@function
_Z21shuffle_offset_kernelILj256EjEvPT0_S1_i: ; @_Z21shuffle_offset_kernelILj256EjEvPT0_S1_i
; %bb.0:
	s_load_dwordx4 s[0:3], s[4:5], 0x0
	s_load_dword s7, s[4:5], 0x10
	v_lshl_or_b32 v1, s6, 8, v0
	v_mov_b32_e32 v2, 0
	v_lshlrev_b64 v[1:2], 2, v[1:2]
	s_waitcnt lgkmcnt(0)
	v_mov_b32_e32 v4, s1
	v_add_co_u32_e32 v3, vcc, s0, v1
	v_addc_co_u32_e32 v4, vcc, v4, v2, vcc
	global_load_dword v4, v[3:4], off
	s_movk_i32 s0, 0x100
	v_lshlrev_b32_e32 v3, 2, v0
	v_add_u32_e32 v0, s7, v0
	v_cmp_gt_u32_e32 vcc, s0, v0
	s_waitcnt vmcnt(0)
	ds_write_b32 v3, v4
	s_waitcnt lgkmcnt(0)
	s_barrier
	s_and_saveexec_b64 s[0:1], vcc
	s_cbranch_execz .LBB7_2
; %bb.1:
	v_lshl_add_u32 v0, s7, 2, v3
	ds_read_b32 v4, v0
	v_mov_b32_e32 v3, s3
	v_add_co_u32_e32 v0, vcc, s2, v1
	v_addc_co_u32_e32 v1, vcc, v3, v2, vcc
	s_waitcnt lgkmcnt(0)
	global_store_dword v[0:1], v4, off
.LBB7_2:
	s_endpgm
	.section	.rodata,"a",@progbits
	.p2align	6, 0x0
	.amdhsa_kernel _Z21shuffle_offset_kernelILj256EjEvPT0_S1_i
		.amdhsa_group_segment_fixed_size 1024
		.amdhsa_private_segment_fixed_size 0
		.amdhsa_kernarg_size 20
		.amdhsa_user_sgpr_count 6
		.amdhsa_user_sgpr_private_segment_buffer 1
		.amdhsa_user_sgpr_dispatch_ptr 0
		.amdhsa_user_sgpr_queue_ptr 0
		.amdhsa_user_sgpr_kernarg_segment_ptr 1
		.amdhsa_user_sgpr_dispatch_id 0
		.amdhsa_user_sgpr_flat_scratch_init 0
		.amdhsa_user_sgpr_private_segment_size 0
		.amdhsa_uses_dynamic_stack 0
		.amdhsa_system_sgpr_private_segment_wavefront_offset 0
		.amdhsa_system_sgpr_workgroup_id_x 1
		.amdhsa_system_sgpr_workgroup_id_y 0
		.amdhsa_system_sgpr_workgroup_id_z 0
		.amdhsa_system_sgpr_workgroup_info 0
		.amdhsa_system_vgpr_workitem_id 0
		.amdhsa_next_free_vgpr 5
		.amdhsa_next_free_sgpr 8
		.amdhsa_reserve_vcc 1
		.amdhsa_reserve_flat_scratch 0
		.amdhsa_float_round_mode_32 0
		.amdhsa_float_round_mode_16_64 0
		.amdhsa_float_denorm_mode_32 3
		.amdhsa_float_denorm_mode_16_64 3
		.amdhsa_dx10_clamp 1
		.amdhsa_ieee_mode 1
		.amdhsa_fp16_overflow 0
		.amdhsa_exception_fp_ieee_invalid_op 0
		.amdhsa_exception_fp_denorm_src 0
		.amdhsa_exception_fp_ieee_div_zero 0
		.amdhsa_exception_fp_ieee_overflow 0
		.amdhsa_exception_fp_ieee_underflow 0
		.amdhsa_exception_fp_ieee_inexact 0
		.amdhsa_exception_int_div_zero 0
	.end_amdhsa_kernel
	.section	.text._Z21shuffle_offset_kernelILj256EjEvPT0_S1_i,"axG",@progbits,_Z21shuffle_offset_kernelILj256EjEvPT0_S1_i,comdat
.Lfunc_end7:
	.size	_Z21shuffle_offset_kernelILj256EjEvPT0_S1_i, .Lfunc_end7-_Z21shuffle_offset_kernelILj256EjEvPT0_S1_i
                                        ; -- End function
	.set _Z21shuffle_offset_kernelILj256EjEvPT0_S1_i.num_vgpr, 5
	.set _Z21shuffle_offset_kernelILj256EjEvPT0_S1_i.num_agpr, 0
	.set _Z21shuffle_offset_kernelILj256EjEvPT0_S1_i.numbered_sgpr, 8
	.set _Z21shuffle_offset_kernelILj256EjEvPT0_S1_i.num_named_barrier, 0
	.set _Z21shuffle_offset_kernelILj256EjEvPT0_S1_i.private_seg_size, 0
	.set _Z21shuffle_offset_kernelILj256EjEvPT0_S1_i.uses_vcc, 1
	.set _Z21shuffle_offset_kernelILj256EjEvPT0_S1_i.uses_flat_scratch, 0
	.set _Z21shuffle_offset_kernelILj256EjEvPT0_S1_i.has_dyn_sized_stack, 0
	.set _Z21shuffle_offset_kernelILj256EjEvPT0_S1_i.has_recursion, 0
	.set _Z21shuffle_offset_kernelILj256EjEvPT0_S1_i.has_indirect_call, 0
	.section	.AMDGPU.csdata,"",@progbits
; Kernel info:
; codeLenInByte = 148
; TotalNumSgprs: 12
; NumVgprs: 5
; ScratchSize: 0
; MemoryBound: 0
; FloatMode: 240
; IeeeMode: 1
; LDSByteSize: 1024 bytes/workgroup (compile time only)
; SGPRBlocks: 1
; VGPRBlocks: 1
; NumSGPRsForWavesPerEU: 12
; NumVGPRsForWavesPerEU: 5
; Occupancy: 10
; WaveLimiterHint : 0
; COMPUTE_PGM_RSRC2:SCRATCH_EN: 0
; COMPUTE_PGM_RSRC2:USER_SGPR: 6
; COMPUTE_PGM_RSRC2:TRAP_HANDLER: 0
; COMPUTE_PGM_RSRC2:TGID_X_EN: 1
; COMPUTE_PGM_RSRC2:TGID_Y_EN: 0
; COMPUTE_PGM_RSRC2:TGID_Z_EN: 0
; COMPUTE_PGM_RSRC2:TIDIG_COMP_CNT: 0
	.section	.text._Z21shuffle_offset_kernelILj64EjEvPT0_S1_i,"axG",@progbits,_Z21shuffle_offset_kernelILj64EjEvPT0_S1_i,comdat
	.protected	_Z21shuffle_offset_kernelILj64EjEvPT0_S1_i ; -- Begin function _Z21shuffle_offset_kernelILj64EjEvPT0_S1_i
	.globl	_Z21shuffle_offset_kernelILj64EjEvPT0_S1_i
	.p2align	8
	.type	_Z21shuffle_offset_kernelILj64EjEvPT0_S1_i,@function
_Z21shuffle_offset_kernelILj64EjEvPT0_S1_i: ; @_Z21shuffle_offset_kernelILj64EjEvPT0_S1_i
; %bb.0:
	s_load_dwordx4 s[0:3], s[4:5], 0x0
	s_load_dword s7, s[4:5], 0x10
	v_lshl_or_b32 v1, s6, 6, v0
	v_mov_b32_e32 v2, 0
	v_lshlrev_b64 v[1:2], 2, v[1:2]
	s_waitcnt lgkmcnt(0)
	v_mov_b32_e32 v4, s1
	v_add_co_u32_e32 v3, vcc, s0, v1
	v_addc_co_u32_e32 v4, vcc, v4, v2, vcc
	global_load_dword v4, v[3:4], off
	v_lshlrev_b32_e32 v3, 2, v0
	v_add_u32_e32 v0, s7, v0
	v_cmp_gt_u32_e32 vcc, 64, v0
	s_waitcnt vmcnt(0)
	ds_write_b32 v3, v4
	s_waitcnt lgkmcnt(0)
	; wave barrier
	s_and_saveexec_b64 s[0:1], vcc
	s_cbranch_execz .LBB8_2
; %bb.1:
	v_lshl_add_u32 v0, s7, 2, v3
	ds_read_b32 v4, v0
	v_mov_b32_e32 v3, s3
	v_add_co_u32_e32 v0, vcc, s2, v1
	v_addc_co_u32_e32 v1, vcc, v3, v2, vcc
	s_waitcnt lgkmcnt(0)
	global_store_dword v[0:1], v4, off
.LBB8_2:
	s_endpgm
	.section	.rodata,"a",@progbits
	.p2align	6, 0x0
	.amdhsa_kernel _Z21shuffle_offset_kernelILj64EjEvPT0_S1_i
		.amdhsa_group_segment_fixed_size 256
		.amdhsa_private_segment_fixed_size 0
		.amdhsa_kernarg_size 20
		.amdhsa_user_sgpr_count 6
		.amdhsa_user_sgpr_private_segment_buffer 1
		.amdhsa_user_sgpr_dispatch_ptr 0
		.amdhsa_user_sgpr_queue_ptr 0
		.amdhsa_user_sgpr_kernarg_segment_ptr 1
		.amdhsa_user_sgpr_dispatch_id 0
		.amdhsa_user_sgpr_flat_scratch_init 0
		.amdhsa_user_sgpr_private_segment_size 0
		.amdhsa_uses_dynamic_stack 0
		.amdhsa_system_sgpr_private_segment_wavefront_offset 0
		.amdhsa_system_sgpr_workgroup_id_x 1
		.amdhsa_system_sgpr_workgroup_id_y 0
		.amdhsa_system_sgpr_workgroup_id_z 0
		.amdhsa_system_sgpr_workgroup_info 0
		.amdhsa_system_vgpr_workitem_id 0
		.amdhsa_next_free_vgpr 5
		.amdhsa_next_free_sgpr 8
		.amdhsa_reserve_vcc 1
		.amdhsa_reserve_flat_scratch 0
		.amdhsa_float_round_mode_32 0
		.amdhsa_float_round_mode_16_64 0
		.amdhsa_float_denorm_mode_32 3
		.amdhsa_float_denorm_mode_16_64 3
		.amdhsa_dx10_clamp 1
		.amdhsa_ieee_mode 1
		.amdhsa_fp16_overflow 0
		.amdhsa_exception_fp_ieee_invalid_op 0
		.amdhsa_exception_fp_denorm_src 0
		.amdhsa_exception_fp_ieee_div_zero 0
		.amdhsa_exception_fp_ieee_overflow 0
		.amdhsa_exception_fp_ieee_underflow 0
		.amdhsa_exception_fp_ieee_inexact 0
		.amdhsa_exception_int_div_zero 0
	.end_amdhsa_kernel
	.section	.text._Z21shuffle_offset_kernelILj64EjEvPT0_S1_i,"axG",@progbits,_Z21shuffle_offset_kernelILj64EjEvPT0_S1_i,comdat
.Lfunc_end8:
	.size	_Z21shuffle_offset_kernelILj64EjEvPT0_S1_i, .Lfunc_end8-_Z21shuffle_offset_kernelILj64EjEvPT0_S1_i
                                        ; -- End function
	.set _Z21shuffle_offset_kernelILj64EjEvPT0_S1_i.num_vgpr, 5
	.set _Z21shuffle_offset_kernelILj64EjEvPT0_S1_i.num_agpr, 0
	.set _Z21shuffle_offset_kernelILj64EjEvPT0_S1_i.numbered_sgpr, 8
	.set _Z21shuffle_offset_kernelILj64EjEvPT0_S1_i.num_named_barrier, 0
	.set _Z21shuffle_offset_kernelILj64EjEvPT0_S1_i.private_seg_size, 0
	.set _Z21shuffle_offset_kernelILj64EjEvPT0_S1_i.uses_vcc, 1
	.set _Z21shuffle_offset_kernelILj64EjEvPT0_S1_i.uses_flat_scratch, 0
	.set _Z21shuffle_offset_kernelILj64EjEvPT0_S1_i.has_dyn_sized_stack, 0
	.set _Z21shuffle_offset_kernelILj64EjEvPT0_S1_i.has_recursion, 0
	.set _Z21shuffle_offset_kernelILj64EjEvPT0_S1_i.has_indirect_call, 0
	.section	.AMDGPU.csdata,"",@progbits
; Kernel info:
; codeLenInByte = 140
; TotalNumSgprs: 12
; NumVgprs: 5
; ScratchSize: 0
; MemoryBound: 0
; FloatMode: 240
; IeeeMode: 1
; LDSByteSize: 256 bytes/workgroup (compile time only)
; SGPRBlocks: 1
; VGPRBlocks: 1
; NumSGPRsForWavesPerEU: 12
; NumVGPRsForWavesPerEU: 5
; Occupancy: 10
; WaveLimiterHint : 0
; COMPUTE_PGM_RSRC2:SCRATCH_EN: 0
; COMPUTE_PGM_RSRC2:USER_SGPR: 6
; COMPUTE_PGM_RSRC2:TRAP_HANDLER: 0
; COMPUTE_PGM_RSRC2:TGID_X_EN: 1
; COMPUTE_PGM_RSRC2:TGID_Y_EN: 0
; COMPUTE_PGM_RSRC2:TGID_Z_EN: 0
; COMPUTE_PGM_RSRC2:TIDIG_COMP_CNT: 0
	.section	.text._Z21shuffle_offset_kernelILj255EiEvPT0_S1_i,"axG",@progbits,_Z21shuffle_offset_kernelILj255EiEvPT0_S1_i,comdat
	.protected	_Z21shuffle_offset_kernelILj255EiEvPT0_S1_i ; -- Begin function _Z21shuffle_offset_kernelILj255EiEvPT0_S1_i
	.globl	_Z21shuffle_offset_kernelILj255EiEvPT0_S1_i
	.p2align	8
	.type	_Z21shuffle_offset_kernelILj255EiEvPT0_S1_i,@function
_Z21shuffle_offset_kernelILj255EiEvPT0_S1_i: ; @_Z21shuffle_offset_kernelILj255EiEvPT0_S1_i
; %bb.0:
	s_load_dwordx4 s[0:3], s[4:5], 0x0
	s_load_dword s7, s[4:5], 0x10
	s_mulk_i32 s6, 0xff
	v_add_u32_e32 v1, s6, v0
	v_mov_b32_e32 v2, 0
	v_lshlrev_b64 v[1:2], 2, v[1:2]
	s_waitcnt lgkmcnt(0)
	v_mov_b32_e32 v4, s1
	v_add_co_u32_e32 v3, vcc, s0, v1
	v_addc_co_u32_e32 v4, vcc, v4, v2, vcc
	global_load_dword v4, v[3:4], off
	s_movk_i32 s0, 0xff
	v_lshlrev_b32_e32 v3, 2, v0
	v_add_u32_e32 v0, s7, v0
	v_cmp_gt_u32_e32 vcc, s0, v0
	s_waitcnt vmcnt(0)
	ds_write_b32 v3, v4
	s_waitcnt lgkmcnt(0)
	s_barrier
	s_and_saveexec_b64 s[0:1], vcc
	s_cbranch_execz .LBB9_2
; %bb.1:
	v_lshl_add_u32 v0, s7, 2, v3
	ds_read_b32 v4, v0
	v_mov_b32_e32 v3, s3
	v_add_co_u32_e32 v0, vcc, s2, v1
	v_addc_co_u32_e32 v1, vcc, v3, v2, vcc
	s_waitcnt lgkmcnt(0)
	global_store_dword v[0:1], v4, off
.LBB9_2:
	s_endpgm
	.section	.rodata,"a",@progbits
	.p2align	6, 0x0
	.amdhsa_kernel _Z21shuffle_offset_kernelILj255EiEvPT0_S1_i
		.amdhsa_group_segment_fixed_size 1020
		.amdhsa_private_segment_fixed_size 0
		.amdhsa_kernarg_size 20
		.amdhsa_user_sgpr_count 6
		.amdhsa_user_sgpr_private_segment_buffer 1
		.amdhsa_user_sgpr_dispatch_ptr 0
		.amdhsa_user_sgpr_queue_ptr 0
		.amdhsa_user_sgpr_kernarg_segment_ptr 1
		.amdhsa_user_sgpr_dispatch_id 0
		.amdhsa_user_sgpr_flat_scratch_init 0
		.amdhsa_user_sgpr_private_segment_size 0
		.amdhsa_uses_dynamic_stack 0
		.amdhsa_system_sgpr_private_segment_wavefront_offset 0
		.amdhsa_system_sgpr_workgroup_id_x 1
		.amdhsa_system_sgpr_workgroup_id_y 0
		.amdhsa_system_sgpr_workgroup_id_z 0
		.amdhsa_system_sgpr_workgroup_info 0
		.amdhsa_system_vgpr_workitem_id 0
		.amdhsa_next_free_vgpr 5
		.amdhsa_next_free_sgpr 8
		.amdhsa_reserve_vcc 1
		.amdhsa_reserve_flat_scratch 0
		.amdhsa_float_round_mode_32 0
		.amdhsa_float_round_mode_16_64 0
		.amdhsa_float_denorm_mode_32 3
		.amdhsa_float_denorm_mode_16_64 3
		.amdhsa_dx10_clamp 1
		.amdhsa_ieee_mode 1
		.amdhsa_fp16_overflow 0
		.amdhsa_exception_fp_ieee_invalid_op 0
		.amdhsa_exception_fp_denorm_src 0
		.amdhsa_exception_fp_ieee_div_zero 0
		.amdhsa_exception_fp_ieee_overflow 0
		.amdhsa_exception_fp_ieee_underflow 0
		.amdhsa_exception_fp_ieee_inexact 0
		.amdhsa_exception_int_div_zero 0
	.end_amdhsa_kernel
	.section	.text._Z21shuffle_offset_kernelILj255EiEvPT0_S1_i,"axG",@progbits,_Z21shuffle_offset_kernelILj255EiEvPT0_S1_i,comdat
.Lfunc_end9:
	.size	_Z21shuffle_offset_kernelILj255EiEvPT0_S1_i, .Lfunc_end9-_Z21shuffle_offset_kernelILj255EiEvPT0_S1_i
                                        ; -- End function
	.set _Z21shuffle_offset_kernelILj255EiEvPT0_S1_i.num_vgpr, 5
	.set _Z21shuffle_offset_kernelILj255EiEvPT0_S1_i.num_agpr, 0
	.set _Z21shuffle_offset_kernelILj255EiEvPT0_S1_i.numbered_sgpr, 8
	.set _Z21shuffle_offset_kernelILj255EiEvPT0_S1_i.num_named_barrier, 0
	.set _Z21shuffle_offset_kernelILj255EiEvPT0_S1_i.private_seg_size, 0
	.set _Z21shuffle_offset_kernelILj255EiEvPT0_S1_i.uses_vcc, 1
	.set _Z21shuffle_offset_kernelILj255EiEvPT0_S1_i.uses_flat_scratch, 0
	.set _Z21shuffle_offset_kernelILj255EiEvPT0_S1_i.has_dyn_sized_stack, 0
	.set _Z21shuffle_offset_kernelILj255EiEvPT0_S1_i.has_recursion, 0
	.set _Z21shuffle_offset_kernelILj255EiEvPT0_S1_i.has_indirect_call, 0
	.section	.AMDGPU.csdata,"",@progbits
; Kernel info:
; codeLenInByte = 148
; TotalNumSgprs: 12
; NumVgprs: 5
; ScratchSize: 0
; MemoryBound: 0
; FloatMode: 240
; IeeeMode: 1
; LDSByteSize: 1020 bytes/workgroup (compile time only)
; SGPRBlocks: 1
; VGPRBlocks: 1
; NumSGPRsForWavesPerEU: 12
; NumVGPRsForWavesPerEU: 5
; Occupancy: 10
; WaveLimiterHint : 0
; COMPUTE_PGM_RSRC2:SCRATCH_EN: 0
; COMPUTE_PGM_RSRC2:USER_SGPR: 6
; COMPUTE_PGM_RSRC2:TRAP_HANDLER: 0
; COMPUTE_PGM_RSRC2:TGID_X_EN: 1
; COMPUTE_PGM_RSRC2:TGID_Y_EN: 0
; COMPUTE_PGM_RSRC2:TGID_Z_EN: 0
; COMPUTE_PGM_RSRC2:TIDIG_COMP_CNT: 0
	.section	.text._Z21shuffle_offset_kernelILj162EiEvPT0_S1_i,"axG",@progbits,_Z21shuffle_offset_kernelILj162EiEvPT0_S1_i,comdat
	.protected	_Z21shuffle_offset_kernelILj162EiEvPT0_S1_i ; -- Begin function _Z21shuffle_offset_kernelILj162EiEvPT0_S1_i
	.globl	_Z21shuffle_offset_kernelILj162EiEvPT0_S1_i
	.p2align	8
	.type	_Z21shuffle_offset_kernelILj162EiEvPT0_S1_i,@function
_Z21shuffle_offset_kernelILj162EiEvPT0_S1_i: ; @_Z21shuffle_offset_kernelILj162EiEvPT0_S1_i
; %bb.0:
	s_load_dwordx4 s[0:3], s[4:5], 0x0
	s_load_dword s7, s[4:5], 0x10
	s_mulk_i32 s6, 0xa2
	v_add_u32_e32 v1, s6, v0
	v_mov_b32_e32 v2, 0
	v_lshlrev_b64 v[1:2], 2, v[1:2]
	s_waitcnt lgkmcnt(0)
	v_mov_b32_e32 v4, s1
	v_add_co_u32_e32 v3, vcc, s0, v1
	v_addc_co_u32_e32 v4, vcc, v4, v2, vcc
	global_load_dword v4, v[3:4], off
	s_movk_i32 s0, 0xa2
	v_lshlrev_b32_e32 v3, 2, v0
	v_add_u32_e32 v0, s7, v0
	v_cmp_gt_u32_e32 vcc, s0, v0
	s_waitcnt vmcnt(0)
	ds_write_b32 v3, v4
	s_waitcnt lgkmcnt(0)
	s_barrier
	s_and_saveexec_b64 s[0:1], vcc
	s_cbranch_execz .LBB10_2
; %bb.1:
	v_lshl_add_u32 v0, s7, 2, v3
	ds_read_b32 v4, v0
	v_mov_b32_e32 v3, s3
	v_add_co_u32_e32 v0, vcc, s2, v1
	v_addc_co_u32_e32 v1, vcc, v3, v2, vcc
	s_waitcnt lgkmcnt(0)
	global_store_dword v[0:1], v4, off
.LBB10_2:
	s_endpgm
	.section	.rodata,"a",@progbits
	.p2align	6, 0x0
	.amdhsa_kernel _Z21shuffle_offset_kernelILj162EiEvPT0_S1_i
		.amdhsa_group_segment_fixed_size 648
		.amdhsa_private_segment_fixed_size 0
		.amdhsa_kernarg_size 20
		.amdhsa_user_sgpr_count 6
		.amdhsa_user_sgpr_private_segment_buffer 1
		.amdhsa_user_sgpr_dispatch_ptr 0
		.amdhsa_user_sgpr_queue_ptr 0
		.amdhsa_user_sgpr_kernarg_segment_ptr 1
		.amdhsa_user_sgpr_dispatch_id 0
		.amdhsa_user_sgpr_flat_scratch_init 0
		.amdhsa_user_sgpr_private_segment_size 0
		.amdhsa_uses_dynamic_stack 0
		.amdhsa_system_sgpr_private_segment_wavefront_offset 0
		.amdhsa_system_sgpr_workgroup_id_x 1
		.amdhsa_system_sgpr_workgroup_id_y 0
		.amdhsa_system_sgpr_workgroup_id_z 0
		.amdhsa_system_sgpr_workgroup_info 0
		.amdhsa_system_vgpr_workitem_id 0
		.amdhsa_next_free_vgpr 5
		.amdhsa_next_free_sgpr 8
		.amdhsa_reserve_vcc 1
		.amdhsa_reserve_flat_scratch 0
		.amdhsa_float_round_mode_32 0
		.amdhsa_float_round_mode_16_64 0
		.amdhsa_float_denorm_mode_32 3
		.amdhsa_float_denorm_mode_16_64 3
		.amdhsa_dx10_clamp 1
		.amdhsa_ieee_mode 1
		.amdhsa_fp16_overflow 0
		.amdhsa_exception_fp_ieee_invalid_op 0
		.amdhsa_exception_fp_denorm_src 0
		.amdhsa_exception_fp_ieee_div_zero 0
		.amdhsa_exception_fp_ieee_overflow 0
		.amdhsa_exception_fp_ieee_underflow 0
		.amdhsa_exception_fp_ieee_inexact 0
		.amdhsa_exception_int_div_zero 0
	.end_amdhsa_kernel
	.section	.text._Z21shuffle_offset_kernelILj162EiEvPT0_S1_i,"axG",@progbits,_Z21shuffle_offset_kernelILj162EiEvPT0_S1_i,comdat
.Lfunc_end10:
	.size	_Z21shuffle_offset_kernelILj162EiEvPT0_S1_i, .Lfunc_end10-_Z21shuffle_offset_kernelILj162EiEvPT0_S1_i
                                        ; -- End function
	.set _Z21shuffle_offset_kernelILj162EiEvPT0_S1_i.num_vgpr, 5
	.set _Z21shuffle_offset_kernelILj162EiEvPT0_S1_i.num_agpr, 0
	.set _Z21shuffle_offset_kernelILj162EiEvPT0_S1_i.numbered_sgpr, 8
	.set _Z21shuffle_offset_kernelILj162EiEvPT0_S1_i.num_named_barrier, 0
	.set _Z21shuffle_offset_kernelILj162EiEvPT0_S1_i.private_seg_size, 0
	.set _Z21shuffle_offset_kernelILj162EiEvPT0_S1_i.uses_vcc, 1
	.set _Z21shuffle_offset_kernelILj162EiEvPT0_S1_i.uses_flat_scratch, 0
	.set _Z21shuffle_offset_kernelILj162EiEvPT0_S1_i.has_dyn_sized_stack, 0
	.set _Z21shuffle_offset_kernelILj162EiEvPT0_S1_i.has_recursion, 0
	.set _Z21shuffle_offset_kernelILj162EiEvPT0_S1_i.has_indirect_call, 0
	.section	.AMDGPU.csdata,"",@progbits
; Kernel info:
; codeLenInByte = 148
; TotalNumSgprs: 12
; NumVgprs: 5
; ScratchSize: 0
; MemoryBound: 0
; FloatMode: 240
; IeeeMode: 1
; LDSByteSize: 648 bytes/workgroup (compile time only)
; SGPRBlocks: 1
; VGPRBlocks: 1
; NumSGPRsForWavesPerEU: 12
; NumVGPRsForWavesPerEU: 5
; Occupancy: 10
; WaveLimiterHint : 0
; COMPUTE_PGM_RSRC2:SCRATCH_EN: 0
; COMPUTE_PGM_RSRC2:USER_SGPR: 6
; COMPUTE_PGM_RSRC2:TRAP_HANDLER: 0
; COMPUTE_PGM_RSRC2:TGID_X_EN: 1
; COMPUTE_PGM_RSRC2:TGID_Y_EN: 0
; COMPUTE_PGM_RSRC2:TGID_Z_EN: 0
; COMPUTE_PGM_RSRC2:TIDIG_COMP_CNT: 0
	.section	.text._Z21shuffle_offset_kernelILj37EiEvPT0_S1_i,"axG",@progbits,_Z21shuffle_offset_kernelILj37EiEvPT0_S1_i,comdat
	.protected	_Z21shuffle_offset_kernelILj37EiEvPT0_S1_i ; -- Begin function _Z21shuffle_offset_kernelILj37EiEvPT0_S1_i
	.globl	_Z21shuffle_offset_kernelILj37EiEvPT0_S1_i
	.p2align	8
	.type	_Z21shuffle_offset_kernelILj37EiEvPT0_S1_i,@function
_Z21shuffle_offset_kernelILj37EiEvPT0_S1_i: ; @_Z21shuffle_offset_kernelILj37EiEvPT0_S1_i
; %bb.0:
	v_mad_u64_u32 v[1:2], s[0:1], s6, 37, v[0:1]
	s_load_dwordx4 s[0:3], s[4:5], 0x0
	s_load_dword s6, s[4:5], 0x10
	v_mov_b32_e32 v2, 0
	v_lshlrev_b64 v[1:2], 2, v[1:2]
	s_waitcnt lgkmcnt(0)
	v_mov_b32_e32 v4, s1
	v_add_co_u32_e32 v3, vcc, s0, v1
	v_addc_co_u32_e32 v4, vcc, v4, v2, vcc
	global_load_dword v4, v[3:4], off
	v_lshlrev_b32_e32 v3, 2, v0
	v_add_u32_e32 v0, s6, v0
	v_cmp_gt_u32_e32 vcc, 37, v0
	s_waitcnt vmcnt(0)
	ds_write_b32 v3, v4
	s_waitcnt lgkmcnt(0)
	; wave barrier
	s_and_saveexec_b64 s[0:1], vcc
	s_cbranch_execz .LBB11_2
; %bb.1:
	v_lshl_add_u32 v0, s6, 2, v3
	ds_read_b32 v4, v0
	v_mov_b32_e32 v3, s3
	v_add_co_u32_e32 v0, vcc, s2, v1
	v_addc_co_u32_e32 v1, vcc, v3, v2, vcc
	s_waitcnt lgkmcnt(0)
	global_store_dword v[0:1], v4, off
.LBB11_2:
	s_endpgm
	.section	.rodata,"a",@progbits
	.p2align	6, 0x0
	.amdhsa_kernel _Z21shuffle_offset_kernelILj37EiEvPT0_S1_i
		.amdhsa_group_segment_fixed_size 148
		.amdhsa_private_segment_fixed_size 0
		.amdhsa_kernarg_size 20
		.amdhsa_user_sgpr_count 6
		.amdhsa_user_sgpr_private_segment_buffer 1
		.amdhsa_user_sgpr_dispatch_ptr 0
		.amdhsa_user_sgpr_queue_ptr 0
		.amdhsa_user_sgpr_kernarg_segment_ptr 1
		.amdhsa_user_sgpr_dispatch_id 0
		.amdhsa_user_sgpr_flat_scratch_init 0
		.amdhsa_user_sgpr_private_segment_size 0
		.amdhsa_uses_dynamic_stack 0
		.amdhsa_system_sgpr_private_segment_wavefront_offset 0
		.amdhsa_system_sgpr_workgroup_id_x 1
		.amdhsa_system_sgpr_workgroup_id_y 0
		.amdhsa_system_sgpr_workgroup_id_z 0
		.amdhsa_system_sgpr_workgroup_info 0
		.amdhsa_system_vgpr_workitem_id 0
		.amdhsa_next_free_vgpr 5
		.amdhsa_next_free_sgpr 7
		.amdhsa_reserve_vcc 1
		.amdhsa_reserve_flat_scratch 0
		.amdhsa_float_round_mode_32 0
		.amdhsa_float_round_mode_16_64 0
		.amdhsa_float_denorm_mode_32 3
		.amdhsa_float_denorm_mode_16_64 3
		.amdhsa_dx10_clamp 1
		.amdhsa_ieee_mode 1
		.amdhsa_fp16_overflow 0
		.amdhsa_exception_fp_ieee_invalid_op 0
		.amdhsa_exception_fp_denorm_src 0
		.amdhsa_exception_fp_ieee_div_zero 0
		.amdhsa_exception_fp_ieee_overflow 0
		.amdhsa_exception_fp_ieee_underflow 0
		.amdhsa_exception_fp_ieee_inexact 0
		.amdhsa_exception_int_div_zero 0
	.end_amdhsa_kernel
	.section	.text._Z21shuffle_offset_kernelILj37EiEvPT0_S1_i,"axG",@progbits,_Z21shuffle_offset_kernelILj37EiEvPT0_S1_i,comdat
.Lfunc_end11:
	.size	_Z21shuffle_offset_kernelILj37EiEvPT0_S1_i, .Lfunc_end11-_Z21shuffle_offset_kernelILj37EiEvPT0_S1_i
                                        ; -- End function
	.set _Z21shuffle_offset_kernelILj37EiEvPT0_S1_i.num_vgpr, 5
	.set _Z21shuffle_offset_kernelILj37EiEvPT0_S1_i.num_agpr, 0
	.set _Z21shuffle_offset_kernelILj37EiEvPT0_S1_i.numbered_sgpr, 7
	.set _Z21shuffle_offset_kernelILj37EiEvPT0_S1_i.num_named_barrier, 0
	.set _Z21shuffle_offset_kernelILj37EiEvPT0_S1_i.private_seg_size, 0
	.set _Z21shuffle_offset_kernelILj37EiEvPT0_S1_i.uses_vcc, 1
	.set _Z21shuffle_offset_kernelILj37EiEvPT0_S1_i.uses_flat_scratch, 0
	.set _Z21shuffle_offset_kernelILj37EiEvPT0_S1_i.has_dyn_sized_stack, 0
	.set _Z21shuffle_offset_kernelILj37EiEvPT0_S1_i.has_recursion, 0
	.set _Z21shuffle_offset_kernelILj37EiEvPT0_S1_i.has_indirect_call, 0
	.section	.AMDGPU.csdata,"",@progbits
; Kernel info:
; codeLenInByte = 140
; TotalNumSgprs: 11
; NumVgprs: 5
; ScratchSize: 0
; MemoryBound: 0
; FloatMode: 240
; IeeeMode: 1
; LDSByteSize: 148 bytes/workgroup (compile time only)
; SGPRBlocks: 1
; VGPRBlocks: 1
; NumSGPRsForWavesPerEU: 11
; NumVGPRsForWavesPerEU: 5
; Occupancy: 10
; WaveLimiterHint : 0
; COMPUTE_PGM_RSRC2:SCRATCH_EN: 0
; COMPUTE_PGM_RSRC2:USER_SGPR: 6
; COMPUTE_PGM_RSRC2:TRAP_HANDLER: 0
; COMPUTE_PGM_RSRC2:TGID_X_EN: 1
; COMPUTE_PGM_RSRC2:TGID_Y_EN: 0
; COMPUTE_PGM_RSRC2:TGID_Z_EN: 0
; COMPUTE_PGM_RSRC2:TIDIG_COMP_CNT: 0
	.section	.text._Z21shuffle_offset_kernelILj65EiEvPT0_S1_i,"axG",@progbits,_Z21shuffle_offset_kernelILj65EiEvPT0_S1_i,comdat
	.protected	_Z21shuffle_offset_kernelILj65EiEvPT0_S1_i ; -- Begin function _Z21shuffle_offset_kernelILj65EiEvPT0_S1_i
	.globl	_Z21shuffle_offset_kernelILj65EiEvPT0_S1_i
	.p2align	8
	.type	_Z21shuffle_offset_kernelILj65EiEvPT0_S1_i,@function
_Z21shuffle_offset_kernelILj65EiEvPT0_S1_i: ; @_Z21shuffle_offset_kernelILj65EiEvPT0_S1_i
; %bb.0:
	s_load_dwordx4 s[0:3], s[4:5], 0x0
	s_load_dword s7, s[4:5], 0x10
	s_mulk_i32 s6, 0x41
	v_add_u32_e32 v1, s6, v0
	v_mov_b32_e32 v2, 0
	v_lshlrev_b64 v[1:2], 2, v[1:2]
	s_waitcnt lgkmcnt(0)
	v_mov_b32_e32 v4, s1
	v_add_co_u32_e32 v3, vcc, s0, v1
	v_addc_co_u32_e32 v4, vcc, v4, v2, vcc
	global_load_dword v4, v[3:4], off
	s_movk_i32 s0, 0x41
	v_lshlrev_b32_e32 v3, 2, v0
	v_add_u32_e32 v0, s7, v0
	v_cmp_gt_u32_e32 vcc, s0, v0
	s_waitcnt vmcnt(0)
	ds_write_b32 v3, v4
	s_waitcnt lgkmcnt(0)
	s_barrier
	s_and_saveexec_b64 s[0:1], vcc
	s_cbranch_execz .LBB12_2
; %bb.1:
	v_lshl_add_u32 v0, s7, 2, v3
	ds_read_b32 v4, v0
	v_mov_b32_e32 v3, s3
	v_add_co_u32_e32 v0, vcc, s2, v1
	v_addc_co_u32_e32 v1, vcc, v3, v2, vcc
	s_waitcnt lgkmcnt(0)
	global_store_dword v[0:1], v4, off
.LBB12_2:
	s_endpgm
	.section	.rodata,"a",@progbits
	.p2align	6, 0x0
	.amdhsa_kernel _Z21shuffle_offset_kernelILj65EiEvPT0_S1_i
		.amdhsa_group_segment_fixed_size 260
		.amdhsa_private_segment_fixed_size 0
		.amdhsa_kernarg_size 20
		.amdhsa_user_sgpr_count 6
		.amdhsa_user_sgpr_private_segment_buffer 1
		.amdhsa_user_sgpr_dispatch_ptr 0
		.amdhsa_user_sgpr_queue_ptr 0
		.amdhsa_user_sgpr_kernarg_segment_ptr 1
		.amdhsa_user_sgpr_dispatch_id 0
		.amdhsa_user_sgpr_flat_scratch_init 0
		.amdhsa_user_sgpr_private_segment_size 0
		.amdhsa_uses_dynamic_stack 0
		.amdhsa_system_sgpr_private_segment_wavefront_offset 0
		.amdhsa_system_sgpr_workgroup_id_x 1
		.amdhsa_system_sgpr_workgroup_id_y 0
		.amdhsa_system_sgpr_workgroup_id_z 0
		.amdhsa_system_sgpr_workgroup_info 0
		.amdhsa_system_vgpr_workitem_id 0
		.amdhsa_next_free_vgpr 5
		.amdhsa_next_free_sgpr 8
		.amdhsa_reserve_vcc 1
		.amdhsa_reserve_flat_scratch 0
		.amdhsa_float_round_mode_32 0
		.amdhsa_float_round_mode_16_64 0
		.amdhsa_float_denorm_mode_32 3
		.amdhsa_float_denorm_mode_16_64 3
		.amdhsa_dx10_clamp 1
		.amdhsa_ieee_mode 1
		.amdhsa_fp16_overflow 0
		.amdhsa_exception_fp_ieee_invalid_op 0
		.amdhsa_exception_fp_denorm_src 0
		.amdhsa_exception_fp_ieee_div_zero 0
		.amdhsa_exception_fp_ieee_overflow 0
		.amdhsa_exception_fp_ieee_underflow 0
		.amdhsa_exception_fp_ieee_inexact 0
		.amdhsa_exception_int_div_zero 0
	.end_amdhsa_kernel
	.section	.text._Z21shuffle_offset_kernelILj65EiEvPT0_S1_i,"axG",@progbits,_Z21shuffle_offset_kernelILj65EiEvPT0_S1_i,comdat
.Lfunc_end12:
	.size	_Z21shuffle_offset_kernelILj65EiEvPT0_S1_i, .Lfunc_end12-_Z21shuffle_offset_kernelILj65EiEvPT0_S1_i
                                        ; -- End function
	.set _Z21shuffle_offset_kernelILj65EiEvPT0_S1_i.num_vgpr, 5
	.set _Z21shuffle_offset_kernelILj65EiEvPT0_S1_i.num_agpr, 0
	.set _Z21shuffle_offset_kernelILj65EiEvPT0_S1_i.numbered_sgpr, 8
	.set _Z21shuffle_offset_kernelILj65EiEvPT0_S1_i.num_named_barrier, 0
	.set _Z21shuffle_offset_kernelILj65EiEvPT0_S1_i.private_seg_size, 0
	.set _Z21shuffle_offset_kernelILj65EiEvPT0_S1_i.uses_vcc, 1
	.set _Z21shuffle_offset_kernelILj65EiEvPT0_S1_i.uses_flat_scratch, 0
	.set _Z21shuffle_offset_kernelILj65EiEvPT0_S1_i.has_dyn_sized_stack, 0
	.set _Z21shuffle_offset_kernelILj65EiEvPT0_S1_i.has_recursion, 0
	.set _Z21shuffle_offset_kernelILj65EiEvPT0_S1_i.has_indirect_call, 0
	.section	.AMDGPU.csdata,"",@progbits
; Kernel info:
; codeLenInByte = 148
; TotalNumSgprs: 12
; NumVgprs: 5
; ScratchSize: 0
; MemoryBound: 0
; FloatMode: 240
; IeeeMode: 1
; LDSByteSize: 260 bytes/workgroup (compile time only)
; SGPRBlocks: 1
; VGPRBlocks: 1
; NumSGPRsForWavesPerEU: 12
; NumVGPRsForWavesPerEU: 5
; Occupancy: 10
; WaveLimiterHint : 0
; COMPUTE_PGM_RSRC2:SCRATCH_EN: 0
; COMPUTE_PGM_RSRC2:USER_SGPR: 6
; COMPUTE_PGM_RSRC2:TRAP_HANDLER: 0
; COMPUTE_PGM_RSRC2:TGID_X_EN: 1
; COMPUTE_PGM_RSRC2:TGID_Y_EN: 0
; COMPUTE_PGM_RSRC2:TGID_Z_EN: 0
; COMPUTE_PGM_RSRC2:TIDIG_COMP_CNT: 0
	.section	.text._Z21shuffle_offset_kernelILj512EiEvPT0_S1_i,"axG",@progbits,_Z21shuffle_offset_kernelILj512EiEvPT0_S1_i,comdat
	.protected	_Z21shuffle_offset_kernelILj512EiEvPT0_S1_i ; -- Begin function _Z21shuffle_offset_kernelILj512EiEvPT0_S1_i
	.globl	_Z21shuffle_offset_kernelILj512EiEvPT0_S1_i
	.p2align	8
	.type	_Z21shuffle_offset_kernelILj512EiEvPT0_S1_i,@function
_Z21shuffle_offset_kernelILj512EiEvPT0_S1_i: ; @_Z21shuffle_offset_kernelILj512EiEvPT0_S1_i
; %bb.0:
	s_load_dwordx4 s[0:3], s[4:5], 0x0
	s_load_dword s7, s[4:5], 0x10
	v_lshl_or_b32 v1, s6, 9, v0
	v_mov_b32_e32 v2, 0
	v_lshlrev_b64 v[1:2], 2, v[1:2]
	s_waitcnt lgkmcnt(0)
	v_mov_b32_e32 v4, s1
	v_add_co_u32_e32 v3, vcc, s0, v1
	v_addc_co_u32_e32 v4, vcc, v4, v2, vcc
	global_load_dword v4, v[3:4], off
	s_movk_i32 s0, 0x200
	v_lshlrev_b32_e32 v3, 2, v0
	v_add_u32_e32 v0, s7, v0
	v_cmp_gt_u32_e32 vcc, s0, v0
	s_waitcnt vmcnt(0)
	ds_write_b32 v3, v4
	s_waitcnt lgkmcnt(0)
	s_barrier
	s_and_saveexec_b64 s[0:1], vcc
	s_cbranch_execz .LBB13_2
; %bb.1:
	v_lshl_add_u32 v0, s7, 2, v3
	ds_read_b32 v4, v0
	v_mov_b32_e32 v3, s3
	v_add_co_u32_e32 v0, vcc, s2, v1
	v_addc_co_u32_e32 v1, vcc, v3, v2, vcc
	s_waitcnt lgkmcnt(0)
	global_store_dword v[0:1], v4, off
.LBB13_2:
	s_endpgm
	.section	.rodata,"a",@progbits
	.p2align	6, 0x0
	.amdhsa_kernel _Z21shuffle_offset_kernelILj512EiEvPT0_S1_i
		.amdhsa_group_segment_fixed_size 2048
		.amdhsa_private_segment_fixed_size 0
		.amdhsa_kernarg_size 20
		.amdhsa_user_sgpr_count 6
		.amdhsa_user_sgpr_private_segment_buffer 1
		.amdhsa_user_sgpr_dispatch_ptr 0
		.amdhsa_user_sgpr_queue_ptr 0
		.amdhsa_user_sgpr_kernarg_segment_ptr 1
		.amdhsa_user_sgpr_dispatch_id 0
		.amdhsa_user_sgpr_flat_scratch_init 0
		.amdhsa_user_sgpr_private_segment_size 0
		.amdhsa_uses_dynamic_stack 0
		.amdhsa_system_sgpr_private_segment_wavefront_offset 0
		.amdhsa_system_sgpr_workgroup_id_x 1
		.amdhsa_system_sgpr_workgroup_id_y 0
		.amdhsa_system_sgpr_workgroup_id_z 0
		.amdhsa_system_sgpr_workgroup_info 0
		.amdhsa_system_vgpr_workitem_id 0
		.amdhsa_next_free_vgpr 5
		.amdhsa_next_free_sgpr 8
		.amdhsa_reserve_vcc 1
		.amdhsa_reserve_flat_scratch 0
		.amdhsa_float_round_mode_32 0
		.amdhsa_float_round_mode_16_64 0
		.amdhsa_float_denorm_mode_32 3
		.amdhsa_float_denorm_mode_16_64 3
		.amdhsa_dx10_clamp 1
		.amdhsa_ieee_mode 1
		.amdhsa_fp16_overflow 0
		.amdhsa_exception_fp_ieee_invalid_op 0
		.amdhsa_exception_fp_denorm_src 0
		.amdhsa_exception_fp_ieee_div_zero 0
		.amdhsa_exception_fp_ieee_overflow 0
		.amdhsa_exception_fp_ieee_underflow 0
		.amdhsa_exception_fp_ieee_inexact 0
		.amdhsa_exception_int_div_zero 0
	.end_amdhsa_kernel
	.section	.text._Z21shuffle_offset_kernelILj512EiEvPT0_S1_i,"axG",@progbits,_Z21shuffle_offset_kernelILj512EiEvPT0_S1_i,comdat
.Lfunc_end13:
	.size	_Z21shuffle_offset_kernelILj512EiEvPT0_S1_i, .Lfunc_end13-_Z21shuffle_offset_kernelILj512EiEvPT0_S1_i
                                        ; -- End function
	.set _Z21shuffle_offset_kernelILj512EiEvPT0_S1_i.num_vgpr, 5
	.set _Z21shuffle_offset_kernelILj512EiEvPT0_S1_i.num_agpr, 0
	.set _Z21shuffle_offset_kernelILj512EiEvPT0_S1_i.numbered_sgpr, 8
	.set _Z21shuffle_offset_kernelILj512EiEvPT0_S1_i.num_named_barrier, 0
	.set _Z21shuffle_offset_kernelILj512EiEvPT0_S1_i.private_seg_size, 0
	.set _Z21shuffle_offset_kernelILj512EiEvPT0_S1_i.uses_vcc, 1
	.set _Z21shuffle_offset_kernelILj512EiEvPT0_S1_i.uses_flat_scratch, 0
	.set _Z21shuffle_offset_kernelILj512EiEvPT0_S1_i.has_dyn_sized_stack, 0
	.set _Z21shuffle_offset_kernelILj512EiEvPT0_S1_i.has_recursion, 0
	.set _Z21shuffle_offset_kernelILj512EiEvPT0_S1_i.has_indirect_call, 0
	.section	.AMDGPU.csdata,"",@progbits
; Kernel info:
; codeLenInByte = 148
; TotalNumSgprs: 12
; NumVgprs: 5
; ScratchSize: 0
; MemoryBound: 0
; FloatMode: 240
; IeeeMode: 1
; LDSByteSize: 2048 bytes/workgroup (compile time only)
; SGPRBlocks: 1
; VGPRBlocks: 1
; NumSGPRsForWavesPerEU: 12
; NumVGPRsForWavesPerEU: 5
; Occupancy: 10
; WaveLimiterHint : 0
; COMPUTE_PGM_RSRC2:SCRATCH_EN: 0
; COMPUTE_PGM_RSRC2:USER_SGPR: 6
; COMPUTE_PGM_RSRC2:TRAP_HANDLER: 0
; COMPUTE_PGM_RSRC2:TGID_X_EN: 1
; COMPUTE_PGM_RSRC2:TGID_Y_EN: 0
; COMPUTE_PGM_RSRC2:TGID_Z_EN: 0
; COMPUTE_PGM_RSRC2:TIDIG_COMP_CNT: 0
	.section	.text._Z21shuffle_offset_kernelILj256EiEvPT0_S1_i,"axG",@progbits,_Z21shuffle_offset_kernelILj256EiEvPT0_S1_i,comdat
	.protected	_Z21shuffle_offset_kernelILj256EiEvPT0_S1_i ; -- Begin function _Z21shuffle_offset_kernelILj256EiEvPT0_S1_i
	.globl	_Z21shuffle_offset_kernelILj256EiEvPT0_S1_i
	.p2align	8
	.type	_Z21shuffle_offset_kernelILj256EiEvPT0_S1_i,@function
_Z21shuffle_offset_kernelILj256EiEvPT0_S1_i: ; @_Z21shuffle_offset_kernelILj256EiEvPT0_S1_i
; %bb.0:
	s_load_dwordx4 s[0:3], s[4:5], 0x0
	s_load_dword s7, s[4:5], 0x10
	v_lshl_or_b32 v1, s6, 8, v0
	v_mov_b32_e32 v2, 0
	v_lshlrev_b64 v[1:2], 2, v[1:2]
	s_waitcnt lgkmcnt(0)
	v_mov_b32_e32 v4, s1
	v_add_co_u32_e32 v3, vcc, s0, v1
	v_addc_co_u32_e32 v4, vcc, v4, v2, vcc
	global_load_dword v4, v[3:4], off
	s_movk_i32 s0, 0x100
	v_lshlrev_b32_e32 v3, 2, v0
	v_add_u32_e32 v0, s7, v0
	v_cmp_gt_u32_e32 vcc, s0, v0
	s_waitcnt vmcnt(0)
	ds_write_b32 v3, v4
	s_waitcnt lgkmcnt(0)
	s_barrier
	s_and_saveexec_b64 s[0:1], vcc
	s_cbranch_execz .LBB14_2
; %bb.1:
	v_lshl_add_u32 v0, s7, 2, v3
	ds_read_b32 v4, v0
	v_mov_b32_e32 v3, s3
	v_add_co_u32_e32 v0, vcc, s2, v1
	v_addc_co_u32_e32 v1, vcc, v3, v2, vcc
	s_waitcnt lgkmcnt(0)
	global_store_dword v[0:1], v4, off
.LBB14_2:
	s_endpgm
	.section	.rodata,"a",@progbits
	.p2align	6, 0x0
	.amdhsa_kernel _Z21shuffle_offset_kernelILj256EiEvPT0_S1_i
		.amdhsa_group_segment_fixed_size 1024
		.amdhsa_private_segment_fixed_size 0
		.amdhsa_kernarg_size 20
		.amdhsa_user_sgpr_count 6
		.amdhsa_user_sgpr_private_segment_buffer 1
		.amdhsa_user_sgpr_dispatch_ptr 0
		.amdhsa_user_sgpr_queue_ptr 0
		.amdhsa_user_sgpr_kernarg_segment_ptr 1
		.amdhsa_user_sgpr_dispatch_id 0
		.amdhsa_user_sgpr_flat_scratch_init 0
		.amdhsa_user_sgpr_private_segment_size 0
		.amdhsa_uses_dynamic_stack 0
		.amdhsa_system_sgpr_private_segment_wavefront_offset 0
		.amdhsa_system_sgpr_workgroup_id_x 1
		.amdhsa_system_sgpr_workgroup_id_y 0
		.amdhsa_system_sgpr_workgroup_id_z 0
		.amdhsa_system_sgpr_workgroup_info 0
		.amdhsa_system_vgpr_workitem_id 0
		.amdhsa_next_free_vgpr 5
		.amdhsa_next_free_sgpr 8
		.amdhsa_reserve_vcc 1
		.amdhsa_reserve_flat_scratch 0
		.amdhsa_float_round_mode_32 0
		.amdhsa_float_round_mode_16_64 0
		.amdhsa_float_denorm_mode_32 3
		.amdhsa_float_denorm_mode_16_64 3
		.amdhsa_dx10_clamp 1
		.amdhsa_ieee_mode 1
		.amdhsa_fp16_overflow 0
		.amdhsa_exception_fp_ieee_invalid_op 0
		.amdhsa_exception_fp_denorm_src 0
		.amdhsa_exception_fp_ieee_div_zero 0
		.amdhsa_exception_fp_ieee_overflow 0
		.amdhsa_exception_fp_ieee_underflow 0
		.amdhsa_exception_fp_ieee_inexact 0
		.amdhsa_exception_int_div_zero 0
	.end_amdhsa_kernel
	.section	.text._Z21shuffle_offset_kernelILj256EiEvPT0_S1_i,"axG",@progbits,_Z21shuffle_offset_kernelILj256EiEvPT0_S1_i,comdat
.Lfunc_end14:
	.size	_Z21shuffle_offset_kernelILj256EiEvPT0_S1_i, .Lfunc_end14-_Z21shuffle_offset_kernelILj256EiEvPT0_S1_i
                                        ; -- End function
	.set _Z21shuffle_offset_kernelILj256EiEvPT0_S1_i.num_vgpr, 5
	.set _Z21shuffle_offset_kernelILj256EiEvPT0_S1_i.num_agpr, 0
	.set _Z21shuffle_offset_kernelILj256EiEvPT0_S1_i.numbered_sgpr, 8
	.set _Z21shuffle_offset_kernelILj256EiEvPT0_S1_i.num_named_barrier, 0
	.set _Z21shuffle_offset_kernelILj256EiEvPT0_S1_i.private_seg_size, 0
	.set _Z21shuffle_offset_kernelILj256EiEvPT0_S1_i.uses_vcc, 1
	.set _Z21shuffle_offset_kernelILj256EiEvPT0_S1_i.uses_flat_scratch, 0
	.set _Z21shuffle_offset_kernelILj256EiEvPT0_S1_i.has_dyn_sized_stack, 0
	.set _Z21shuffle_offset_kernelILj256EiEvPT0_S1_i.has_recursion, 0
	.set _Z21shuffle_offset_kernelILj256EiEvPT0_S1_i.has_indirect_call, 0
	.section	.AMDGPU.csdata,"",@progbits
; Kernel info:
; codeLenInByte = 148
; TotalNumSgprs: 12
; NumVgprs: 5
; ScratchSize: 0
; MemoryBound: 0
; FloatMode: 240
; IeeeMode: 1
; LDSByteSize: 1024 bytes/workgroup (compile time only)
; SGPRBlocks: 1
; VGPRBlocks: 1
; NumSGPRsForWavesPerEU: 12
; NumVGPRsForWavesPerEU: 5
; Occupancy: 10
; WaveLimiterHint : 0
; COMPUTE_PGM_RSRC2:SCRATCH_EN: 0
; COMPUTE_PGM_RSRC2:USER_SGPR: 6
; COMPUTE_PGM_RSRC2:TRAP_HANDLER: 0
; COMPUTE_PGM_RSRC2:TGID_X_EN: 1
; COMPUTE_PGM_RSRC2:TGID_Y_EN: 0
; COMPUTE_PGM_RSRC2:TGID_Z_EN: 0
; COMPUTE_PGM_RSRC2:TIDIG_COMP_CNT: 0
	.section	.text._Z21shuffle_offset_kernelILj128EiEvPT0_S1_i,"axG",@progbits,_Z21shuffle_offset_kernelILj128EiEvPT0_S1_i,comdat
	.protected	_Z21shuffle_offset_kernelILj128EiEvPT0_S1_i ; -- Begin function _Z21shuffle_offset_kernelILj128EiEvPT0_S1_i
	.globl	_Z21shuffle_offset_kernelILj128EiEvPT0_S1_i
	.p2align	8
	.type	_Z21shuffle_offset_kernelILj128EiEvPT0_S1_i,@function
_Z21shuffle_offset_kernelILj128EiEvPT0_S1_i: ; @_Z21shuffle_offset_kernelILj128EiEvPT0_S1_i
; %bb.0:
	s_load_dwordx4 s[0:3], s[4:5], 0x0
	s_load_dword s7, s[4:5], 0x10
	v_lshl_or_b32 v1, s6, 7, v0
	v_mov_b32_e32 v2, 0
	v_lshlrev_b64 v[1:2], 2, v[1:2]
	s_waitcnt lgkmcnt(0)
	v_mov_b32_e32 v4, s1
	v_add_co_u32_e32 v3, vcc, s0, v1
	v_addc_co_u32_e32 v4, vcc, v4, v2, vcc
	global_load_dword v4, v[3:4], off
	s_movk_i32 s0, 0x80
	v_lshlrev_b32_e32 v3, 2, v0
	v_add_u32_e32 v0, s7, v0
	v_cmp_gt_u32_e32 vcc, s0, v0
	s_waitcnt vmcnt(0)
	ds_write_b32 v3, v4
	s_waitcnt lgkmcnt(0)
	s_barrier
	s_and_saveexec_b64 s[0:1], vcc
	s_cbranch_execz .LBB15_2
; %bb.1:
	v_lshl_add_u32 v0, s7, 2, v3
	ds_read_b32 v4, v0
	v_mov_b32_e32 v3, s3
	v_add_co_u32_e32 v0, vcc, s2, v1
	v_addc_co_u32_e32 v1, vcc, v3, v2, vcc
	s_waitcnt lgkmcnt(0)
	global_store_dword v[0:1], v4, off
.LBB15_2:
	s_endpgm
	.section	.rodata,"a",@progbits
	.p2align	6, 0x0
	.amdhsa_kernel _Z21shuffle_offset_kernelILj128EiEvPT0_S1_i
		.amdhsa_group_segment_fixed_size 512
		.amdhsa_private_segment_fixed_size 0
		.amdhsa_kernarg_size 20
		.amdhsa_user_sgpr_count 6
		.amdhsa_user_sgpr_private_segment_buffer 1
		.amdhsa_user_sgpr_dispatch_ptr 0
		.amdhsa_user_sgpr_queue_ptr 0
		.amdhsa_user_sgpr_kernarg_segment_ptr 1
		.amdhsa_user_sgpr_dispatch_id 0
		.amdhsa_user_sgpr_flat_scratch_init 0
		.amdhsa_user_sgpr_private_segment_size 0
		.amdhsa_uses_dynamic_stack 0
		.amdhsa_system_sgpr_private_segment_wavefront_offset 0
		.amdhsa_system_sgpr_workgroup_id_x 1
		.amdhsa_system_sgpr_workgroup_id_y 0
		.amdhsa_system_sgpr_workgroup_id_z 0
		.amdhsa_system_sgpr_workgroup_info 0
		.amdhsa_system_vgpr_workitem_id 0
		.amdhsa_next_free_vgpr 5
		.amdhsa_next_free_sgpr 8
		.amdhsa_reserve_vcc 1
		.amdhsa_reserve_flat_scratch 0
		.amdhsa_float_round_mode_32 0
		.amdhsa_float_round_mode_16_64 0
		.amdhsa_float_denorm_mode_32 3
		.amdhsa_float_denorm_mode_16_64 3
		.amdhsa_dx10_clamp 1
		.amdhsa_ieee_mode 1
		.amdhsa_fp16_overflow 0
		.amdhsa_exception_fp_ieee_invalid_op 0
		.amdhsa_exception_fp_denorm_src 0
		.amdhsa_exception_fp_ieee_div_zero 0
		.amdhsa_exception_fp_ieee_overflow 0
		.amdhsa_exception_fp_ieee_underflow 0
		.amdhsa_exception_fp_ieee_inexact 0
		.amdhsa_exception_int_div_zero 0
	.end_amdhsa_kernel
	.section	.text._Z21shuffle_offset_kernelILj128EiEvPT0_S1_i,"axG",@progbits,_Z21shuffle_offset_kernelILj128EiEvPT0_S1_i,comdat
.Lfunc_end15:
	.size	_Z21shuffle_offset_kernelILj128EiEvPT0_S1_i, .Lfunc_end15-_Z21shuffle_offset_kernelILj128EiEvPT0_S1_i
                                        ; -- End function
	.set _Z21shuffle_offset_kernelILj128EiEvPT0_S1_i.num_vgpr, 5
	.set _Z21shuffle_offset_kernelILj128EiEvPT0_S1_i.num_agpr, 0
	.set _Z21shuffle_offset_kernelILj128EiEvPT0_S1_i.numbered_sgpr, 8
	.set _Z21shuffle_offset_kernelILj128EiEvPT0_S1_i.num_named_barrier, 0
	.set _Z21shuffle_offset_kernelILj128EiEvPT0_S1_i.private_seg_size, 0
	.set _Z21shuffle_offset_kernelILj128EiEvPT0_S1_i.uses_vcc, 1
	.set _Z21shuffle_offset_kernelILj128EiEvPT0_S1_i.uses_flat_scratch, 0
	.set _Z21shuffle_offset_kernelILj128EiEvPT0_S1_i.has_dyn_sized_stack, 0
	.set _Z21shuffle_offset_kernelILj128EiEvPT0_S1_i.has_recursion, 0
	.set _Z21shuffle_offset_kernelILj128EiEvPT0_S1_i.has_indirect_call, 0
	.section	.AMDGPU.csdata,"",@progbits
; Kernel info:
; codeLenInByte = 148
; TotalNumSgprs: 12
; NumVgprs: 5
; ScratchSize: 0
; MemoryBound: 0
; FloatMode: 240
; IeeeMode: 1
; LDSByteSize: 512 bytes/workgroup (compile time only)
; SGPRBlocks: 1
; VGPRBlocks: 1
; NumSGPRsForWavesPerEU: 12
; NumVGPRsForWavesPerEU: 5
; Occupancy: 10
; WaveLimiterHint : 0
; COMPUTE_PGM_RSRC2:SCRATCH_EN: 0
; COMPUTE_PGM_RSRC2:USER_SGPR: 6
; COMPUTE_PGM_RSRC2:TRAP_HANDLER: 0
; COMPUTE_PGM_RSRC2:TGID_X_EN: 1
; COMPUTE_PGM_RSRC2:TGID_Y_EN: 0
; COMPUTE_PGM_RSRC2:TGID_Z_EN: 0
; COMPUTE_PGM_RSRC2:TIDIG_COMP_CNT: 0
	.section	.text._Z21shuffle_offset_kernelILj64EiEvPT0_S1_i,"axG",@progbits,_Z21shuffle_offset_kernelILj64EiEvPT0_S1_i,comdat
	.protected	_Z21shuffle_offset_kernelILj64EiEvPT0_S1_i ; -- Begin function _Z21shuffle_offset_kernelILj64EiEvPT0_S1_i
	.globl	_Z21shuffle_offset_kernelILj64EiEvPT0_S1_i
	.p2align	8
	.type	_Z21shuffle_offset_kernelILj64EiEvPT0_S1_i,@function
_Z21shuffle_offset_kernelILj64EiEvPT0_S1_i: ; @_Z21shuffle_offset_kernelILj64EiEvPT0_S1_i
; %bb.0:
	s_load_dwordx4 s[0:3], s[4:5], 0x0
	s_load_dword s7, s[4:5], 0x10
	v_lshl_or_b32 v1, s6, 6, v0
	v_mov_b32_e32 v2, 0
	v_lshlrev_b64 v[1:2], 2, v[1:2]
	s_waitcnt lgkmcnt(0)
	v_mov_b32_e32 v4, s1
	v_add_co_u32_e32 v3, vcc, s0, v1
	v_addc_co_u32_e32 v4, vcc, v4, v2, vcc
	global_load_dword v4, v[3:4], off
	v_lshlrev_b32_e32 v3, 2, v0
	v_add_u32_e32 v0, s7, v0
	v_cmp_gt_u32_e32 vcc, 64, v0
	s_waitcnt vmcnt(0)
	ds_write_b32 v3, v4
	s_waitcnt lgkmcnt(0)
	; wave barrier
	s_and_saveexec_b64 s[0:1], vcc
	s_cbranch_execz .LBB16_2
; %bb.1:
	v_lshl_add_u32 v0, s7, 2, v3
	ds_read_b32 v4, v0
	v_mov_b32_e32 v3, s3
	v_add_co_u32_e32 v0, vcc, s2, v1
	v_addc_co_u32_e32 v1, vcc, v3, v2, vcc
	s_waitcnt lgkmcnt(0)
	global_store_dword v[0:1], v4, off
.LBB16_2:
	s_endpgm
	.section	.rodata,"a",@progbits
	.p2align	6, 0x0
	.amdhsa_kernel _Z21shuffle_offset_kernelILj64EiEvPT0_S1_i
		.amdhsa_group_segment_fixed_size 256
		.amdhsa_private_segment_fixed_size 0
		.amdhsa_kernarg_size 20
		.amdhsa_user_sgpr_count 6
		.amdhsa_user_sgpr_private_segment_buffer 1
		.amdhsa_user_sgpr_dispatch_ptr 0
		.amdhsa_user_sgpr_queue_ptr 0
		.amdhsa_user_sgpr_kernarg_segment_ptr 1
		.amdhsa_user_sgpr_dispatch_id 0
		.amdhsa_user_sgpr_flat_scratch_init 0
		.amdhsa_user_sgpr_private_segment_size 0
		.amdhsa_uses_dynamic_stack 0
		.amdhsa_system_sgpr_private_segment_wavefront_offset 0
		.amdhsa_system_sgpr_workgroup_id_x 1
		.amdhsa_system_sgpr_workgroup_id_y 0
		.amdhsa_system_sgpr_workgroup_id_z 0
		.amdhsa_system_sgpr_workgroup_info 0
		.amdhsa_system_vgpr_workitem_id 0
		.amdhsa_next_free_vgpr 5
		.amdhsa_next_free_sgpr 8
		.amdhsa_reserve_vcc 1
		.amdhsa_reserve_flat_scratch 0
		.amdhsa_float_round_mode_32 0
		.amdhsa_float_round_mode_16_64 0
		.amdhsa_float_denorm_mode_32 3
		.amdhsa_float_denorm_mode_16_64 3
		.amdhsa_dx10_clamp 1
		.amdhsa_ieee_mode 1
		.amdhsa_fp16_overflow 0
		.amdhsa_exception_fp_ieee_invalid_op 0
		.amdhsa_exception_fp_denorm_src 0
		.amdhsa_exception_fp_ieee_div_zero 0
		.amdhsa_exception_fp_ieee_overflow 0
		.amdhsa_exception_fp_ieee_underflow 0
		.amdhsa_exception_fp_ieee_inexact 0
		.amdhsa_exception_int_div_zero 0
	.end_amdhsa_kernel
	.section	.text._Z21shuffle_offset_kernelILj64EiEvPT0_S1_i,"axG",@progbits,_Z21shuffle_offset_kernelILj64EiEvPT0_S1_i,comdat
.Lfunc_end16:
	.size	_Z21shuffle_offset_kernelILj64EiEvPT0_S1_i, .Lfunc_end16-_Z21shuffle_offset_kernelILj64EiEvPT0_S1_i
                                        ; -- End function
	.set _Z21shuffle_offset_kernelILj64EiEvPT0_S1_i.num_vgpr, 5
	.set _Z21shuffle_offset_kernelILj64EiEvPT0_S1_i.num_agpr, 0
	.set _Z21shuffle_offset_kernelILj64EiEvPT0_S1_i.numbered_sgpr, 8
	.set _Z21shuffle_offset_kernelILj64EiEvPT0_S1_i.num_named_barrier, 0
	.set _Z21shuffle_offset_kernelILj64EiEvPT0_S1_i.private_seg_size, 0
	.set _Z21shuffle_offset_kernelILj64EiEvPT0_S1_i.uses_vcc, 1
	.set _Z21shuffle_offset_kernelILj64EiEvPT0_S1_i.uses_flat_scratch, 0
	.set _Z21shuffle_offset_kernelILj64EiEvPT0_S1_i.has_dyn_sized_stack, 0
	.set _Z21shuffle_offset_kernelILj64EiEvPT0_S1_i.has_recursion, 0
	.set _Z21shuffle_offset_kernelILj64EiEvPT0_S1_i.has_indirect_call, 0
	.section	.AMDGPU.csdata,"",@progbits
; Kernel info:
; codeLenInByte = 140
; TotalNumSgprs: 12
; NumVgprs: 5
; ScratchSize: 0
; MemoryBound: 0
; FloatMode: 240
; IeeeMode: 1
; LDSByteSize: 256 bytes/workgroup (compile time only)
; SGPRBlocks: 1
; VGPRBlocks: 1
; NumSGPRsForWavesPerEU: 12
; NumVGPRsForWavesPerEU: 5
; Occupancy: 10
; WaveLimiterHint : 0
; COMPUTE_PGM_RSRC2:SCRATCH_EN: 0
; COMPUTE_PGM_RSRC2:USER_SGPR: 6
; COMPUTE_PGM_RSRC2:TRAP_HANDLER: 0
; COMPUTE_PGM_RSRC2:TGID_X_EN: 1
; COMPUTE_PGM_RSRC2:TGID_Y_EN: 0
; COMPUTE_PGM_RSRC2:TGID_Z_EN: 0
; COMPUTE_PGM_RSRC2:TIDIG_COMP_CNT: 0
	.section	.text._Z21shuffle_rotate_kernelILj32E12hip_bfloat16EvPT0_S2_i,"axG",@progbits,_Z21shuffle_rotate_kernelILj32E12hip_bfloat16EvPT0_S2_i,comdat
	.protected	_Z21shuffle_rotate_kernelILj32E12hip_bfloat16EvPT0_S2_i ; -- Begin function _Z21shuffle_rotate_kernelILj32E12hip_bfloat16EvPT0_S2_i
	.globl	_Z21shuffle_rotate_kernelILj32E12hip_bfloat16EvPT0_S2_i
	.p2align	8
	.type	_Z21shuffle_rotate_kernelILj32E12hip_bfloat16EvPT0_S2_i,@function
_Z21shuffle_rotate_kernelILj32E12hip_bfloat16EvPT0_S2_i: ; @_Z21shuffle_rotate_kernelILj32E12hip_bfloat16EvPT0_S2_i
; %bb.0:
	s_load_dwordx4 s[0:3], s[4:5], 0x0
	s_load_dword s7, s[4:5], 0x10
	v_lshl_or_b32 v1, s6, 5, v0
	v_mov_b32_e32 v2, 0
	v_lshlrev_b64 v[1:2], 1, v[1:2]
	s_waitcnt lgkmcnt(0)
	v_mov_b32_e32 v4, s1
	v_add_co_u32_e32 v3, vcc, s0, v1
	v_addc_co_u32_e32 v4, vcc, v4, v2, vcc
	global_load_ushort v3, v[3:4], off
	v_lshlrev_b32_e32 v5, 1, v0
	v_add_u32_e32 v0, s7, v0
	v_lshrrev_b32_e32 v7, 26, v0
	v_not_b32_e32 v4, 31
	v_and_b32_e32 v7, 32, v7
	v_cmp_gt_i32_e32 vcc, 32, v0
	v_cndmask_b32_e32 v0, v4, v7, vcc
	s_lshl_b32 s0, s7, 1
	v_lshlrev_b32_e32 v0, 1, v0
	v_add3_u32 v0, v5, s0, v0
	v_mov_b32_e32 v6, s3
	s_waitcnt vmcnt(0)
	ds_write_b16 v5, v3
	s_waitcnt lgkmcnt(0)
	; wave barrier
	ds_read_u16 v3, v0
	v_add_co_u32_e32 v0, vcc, s2, v1
	v_addc_co_u32_e32 v1, vcc, v6, v2, vcc
	s_waitcnt lgkmcnt(0)
	global_store_short v[0:1], v3, off
	s_endpgm
	.section	.rodata,"a",@progbits
	.p2align	6, 0x0
	.amdhsa_kernel _Z21shuffle_rotate_kernelILj32E12hip_bfloat16EvPT0_S2_i
		.amdhsa_group_segment_fixed_size 64
		.amdhsa_private_segment_fixed_size 0
		.amdhsa_kernarg_size 20
		.amdhsa_user_sgpr_count 6
		.amdhsa_user_sgpr_private_segment_buffer 1
		.amdhsa_user_sgpr_dispatch_ptr 0
		.amdhsa_user_sgpr_queue_ptr 0
		.amdhsa_user_sgpr_kernarg_segment_ptr 1
		.amdhsa_user_sgpr_dispatch_id 0
		.amdhsa_user_sgpr_flat_scratch_init 0
		.amdhsa_user_sgpr_private_segment_size 0
		.amdhsa_uses_dynamic_stack 0
		.amdhsa_system_sgpr_private_segment_wavefront_offset 0
		.amdhsa_system_sgpr_workgroup_id_x 1
		.amdhsa_system_sgpr_workgroup_id_y 0
		.amdhsa_system_sgpr_workgroup_id_z 0
		.amdhsa_system_sgpr_workgroup_info 0
		.amdhsa_system_vgpr_workitem_id 0
		.amdhsa_next_free_vgpr 8
		.amdhsa_next_free_sgpr 8
		.amdhsa_reserve_vcc 1
		.amdhsa_reserve_flat_scratch 0
		.amdhsa_float_round_mode_32 0
		.amdhsa_float_round_mode_16_64 0
		.amdhsa_float_denorm_mode_32 3
		.amdhsa_float_denorm_mode_16_64 3
		.amdhsa_dx10_clamp 1
		.amdhsa_ieee_mode 1
		.amdhsa_fp16_overflow 0
		.amdhsa_exception_fp_ieee_invalid_op 0
		.amdhsa_exception_fp_denorm_src 0
		.amdhsa_exception_fp_ieee_div_zero 0
		.amdhsa_exception_fp_ieee_overflow 0
		.amdhsa_exception_fp_ieee_underflow 0
		.amdhsa_exception_fp_ieee_inexact 0
		.amdhsa_exception_int_div_zero 0
	.end_amdhsa_kernel
	.section	.text._Z21shuffle_rotate_kernelILj32E12hip_bfloat16EvPT0_S2_i,"axG",@progbits,_Z21shuffle_rotate_kernelILj32E12hip_bfloat16EvPT0_S2_i,comdat
.Lfunc_end17:
	.size	_Z21shuffle_rotate_kernelILj32E12hip_bfloat16EvPT0_S2_i, .Lfunc_end17-_Z21shuffle_rotate_kernelILj32E12hip_bfloat16EvPT0_S2_i
                                        ; -- End function
	.set _Z21shuffle_rotate_kernelILj32E12hip_bfloat16EvPT0_S2_i.num_vgpr, 8
	.set _Z21shuffle_rotate_kernelILj32E12hip_bfloat16EvPT0_S2_i.num_agpr, 0
	.set _Z21shuffle_rotate_kernelILj32E12hip_bfloat16EvPT0_S2_i.numbered_sgpr, 8
	.set _Z21shuffle_rotate_kernelILj32E12hip_bfloat16EvPT0_S2_i.num_named_barrier, 0
	.set _Z21shuffle_rotate_kernelILj32E12hip_bfloat16EvPT0_S2_i.private_seg_size, 0
	.set _Z21shuffle_rotate_kernelILj32E12hip_bfloat16EvPT0_S2_i.uses_vcc, 1
	.set _Z21shuffle_rotate_kernelILj32E12hip_bfloat16EvPT0_S2_i.uses_flat_scratch, 0
	.set _Z21shuffle_rotate_kernelILj32E12hip_bfloat16EvPT0_S2_i.has_dyn_sized_stack, 0
	.set _Z21shuffle_rotate_kernelILj32E12hip_bfloat16EvPT0_S2_i.has_recursion, 0
	.set _Z21shuffle_rotate_kernelILj32E12hip_bfloat16EvPT0_S2_i.has_indirect_call, 0
	.section	.AMDGPU.csdata,"",@progbits
; Kernel info:
; codeLenInByte = 156
; TotalNumSgprs: 12
; NumVgprs: 8
; ScratchSize: 0
; MemoryBound: 0
; FloatMode: 240
; IeeeMode: 1
; LDSByteSize: 64 bytes/workgroup (compile time only)
; SGPRBlocks: 1
; VGPRBlocks: 1
; NumSGPRsForWavesPerEU: 12
; NumVGPRsForWavesPerEU: 8
; Occupancy: 10
; WaveLimiterHint : 0
; COMPUTE_PGM_RSRC2:SCRATCH_EN: 0
; COMPUTE_PGM_RSRC2:USER_SGPR: 6
; COMPUTE_PGM_RSRC2:TRAP_HANDLER: 0
; COMPUTE_PGM_RSRC2:TGID_X_EN: 1
; COMPUTE_PGM_RSRC2:TGID_Y_EN: 0
; COMPUTE_PGM_RSRC2:TGID_Z_EN: 0
; COMPUTE_PGM_RSRC2:TIDIG_COMP_CNT: 0
	.section	.text._Z21shuffle_rotate_kernelILj32E6__halfEvPT0_S2_i,"axG",@progbits,_Z21shuffle_rotate_kernelILj32E6__halfEvPT0_S2_i,comdat
	.protected	_Z21shuffle_rotate_kernelILj32E6__halfEvPT0_S2_i ; -- Begin function _Z21shuffle_rotate_kernelILj32E6__halfEvPT0_S2_i
	.globl	_Z21shuffle_rotate_kernelILj32E6__halfEvPT0_S2_i
	.p2align	8
	.type	_Z21shuffle_rotate_kernelILj32E6__halfEvPT0_S2_i,@function
_Z21shuffle_rotate_kernelILj32E6__halfEvPT0_S2_i: ; @_Z21shuffle_rotate_kernelILj32E6__halfEvPT0_S2_i
; %bb.0:
	s_load_dwordx4 s[0:3], s[4:5], 0x0
	s_load_dword s7, s[4:5], 0x10
	v_lshl_or_b32 v1, s6, 5, v0
	v_mov_b32_e32 v2, 0
	v_lshlrev_b64 v[1:2], 1, v[1:2]
	s_waitcnt lgkmcnt(0)
	v_mov_b32_e32 v4, s1
	v_add_co_u32_e32 v3, vcc, s0, v1
	v_addc_co_u32_e32 v4, vcc, v4, v2, vcc
	global_load_ushort v3, v[3:4], off
	v_lshlrev_b32_e32 v5, 1, v0
	v_add_u32_e32 v0, s7, v0
	v_lshrrev_b32_e32 v7, 26, v0
	v_not_b32_e32 v4, 31
	v_and_b32_e32 v7, 32, v7
	v_cmp_gt_i32_e32 vcc, 32, v0
	v_cndmask_b32_e32 v0, v4, v7, vcc
	s_lshl_b32 s0, s7, 1
	v_lshlrev_b32_e32 v0, 1, v0
	v_add3_u32 v0, v5, s0, v0
	v_mov_b32_e32 v6, s3
	s_waitcnt vmcnt(0)
	ds_write_b16 v5, v3
	s_waitcnt lgkmcnt(0)
	; wave barrier
	ds_read_u16 v3, v0
	v_add_co_u32_e32 v0, vcc, s2, v1
	v_addc_co_u32_e32 v1, vcc, v6, v2, vcc
	s_waitcnt lgkmcnt(0)
	global_store_short v[0:1], v3, off
	s_endpgm
	.section	.rodata,"a",@progbits
	.p2align	6, 0x0
	.amdhsa_kernel _Z21shuffle_rotate_kernelILj32E6__halfEvPT0_S2_i
		.amdhsa_group_segment_fixed_size 64
		.amdhsa_private_segment_fixed_size 0
		.amdhsa_kernarg_size 20
		.amdhsa_user_sgpr_count 6
		.amdhsa_user_sgpr_private_segment_buffer 1
		.amdhsa_user_sgpr_dispatch_ptr 0
		.amdhsa_user_sgpr_queue_ptr 0
		.amdhsa_user_sgpr_kernarg_segment_ptr 1
		.amdhsa_user_sgpr_dispatch_id 0
		.amdhsa_user_sgpr_flat_scratch_init 0
		.amdhsa_user_sgpr_private_segment_size 0
		.amdhsa_uses_dynamic_stack 0
		.amdhsa_system_sgpr_private_segment_wavefront_offset 0
		.amdhsa_system_sgpr_workgroup_id_x 1
		.amdhsa_system_sgpr_workgroup_id_y 0
		.amdhsa_system_sgpr_workgroup_id_z 0
		.amdhsa_system_sgpr_workgroup_info 0
		.amdhsa_system_vgpr_workitem_id 0
		.amdhsa_next_free_vgpr 8
		.amdhsa_next_free_sgpr 8
		.amdhsa_reserve_vcc 1
		.amdhsa_reserve_flat_scratch 0
		.amdhsa_float_round_mode_32 0
		.amdhsa_float_round_mode_16_64 0
		.amdhsa_float_denorm_mode_32 3
		.amdhsa_float_denorm_mode_16_64 3
		.amdhsa_dx10_clamp 1
		.amdhsa_ieee_mode 1
		.amdhsa_fp16_overflow 0
		.amdhsa_exception_fp_ieee_invalid_op 0
		.amdhsa_exception_fp_denorm_src 0
		.amdhsa_exception_fp_ieee_div_zero 0
		.amdhsa_exception_fp_ieee_overflow 0
		.amdhsa_exception_fp_ieee_underflow 0
		.amdhsa_exception_fp_ieee_inexact 0
		.amdhsa_exception_int_div_zero 0
	.end_amdhsa_kernel
	.section	.text._Z21shuffle_rotate_kernelILj32E6__halfEvPT0_S2_i,"axG",@progbits,_Z21shuffle_rotate_kernelILj32E6__halfEvPT0_S2_i,comdat
.Lfunc_end18:
	.size	_Z21shuffle_rotate_kernelILj32E6__halfEvPT0_S2_i, .Lfunc_end18-_Z21shuffle_rotate_kernelILj32E6__halfEvPT0_S2_i
                                        ; -- End function
	.set _Z21shuffle_rotate_kernelILj32E6__halfEvPT0_S2_i.num_vgpr, 8
	.set _Z21shuffle_rotate_kernelILj32E6__halfEvPT0_S2_i.num_agpr, 0
	.set _Z21shuffle_rotate_kernelILj32E6__halfEvPT0_S2_i.numbered_sgpr, 8
	.set _Z21shuffle_rotate_kernelILj32E6__halfEvPT0_S2_i.num_named_barrier, 0
	.set _Z21shuffle_rotate_kernelILj32E6__halfEvPT0_S2_i.private_seg_size, 0
	.set _Z21shuffle_rotate_kernelILj32E6__halfEvPT0_S2_i.uses_vcc, 1
	.set _Z21shuffle_rotate_kernelILj32E6__halfEvPT0_S2_i.uses_flat_scratch, 0
	.set _Z21shuffle_rotate_kernelILj32E6__halfEvPT0_S2_i.has_dyn_sized_stack, 0
	.set _Z21shuffle_rotate_kernelILj32E6__halfEvPT0_S2_i.has_recursion, 0
	.set _Z21shuffle_rotate_kernelILj32E6__halfEvPT0_S2_i.has_indirect_call, 0
	.section	.AMDGPU.csdata,"",@progbits
; Kernel info:
; codeLenInByte = 156
; TotalNumSgprs: 12
; NumVgprs: 8
; ScratchSize: 0
; MemoryBound: 0
; FloatMode: 240
; IeeeMode: 1
; LDSByteSize: 64 bytes/workgroup (compile time only)
; SGPRBlocks: 1
; VGPRBlocks: 1
; NumSGPRsForWavesPerEU: 12
; NumVGPRsForWavesPerEU: 8
; Occupancy: 10
; WaveLimiterHint : 0
; COMPUTE_PGM_RSRC2:SCRATCH_EN: 0
; COMPUTE_PGM_RSRC2:USER_SGPR: 6
; COMPUTE_PGM_RSRC2:TRAP_HANDLER: 0
; COMPUTE_PGM_RSRC2:TGID_X_EN: 1
; COMPUTE_PGM_RSRC2:TGID_Y_EN: 0
; COMPUTE_PGM_RSRC2:TGID_Z_EN: 0
; COMPUTE_PGM_RSRC2:TIDIG_COMP_CNT: 0
	.section	.text._Z21shuffle_rotate_kernelILj32EfEvPT0_S1_i,"axG",@progbits,_Z21shuffle_rotate_kernelILj32EfEvPT0_S1_i,comdat
	.protected	_Z21shuffle_rotate_kernelILj32EfEvPT0_S1_i ; -- Begin function _Z21shuffle_rotate_kernelILj32EfEvPT0_S1_i
	.globl	_Z21shuffle_rotate_kernelILj32EfEvPT0_S1_i
	.p2align	8
	.type	_Z21shuffle_rotate_kernelILj32EfEvPT0_S1_i,@function
_Z21shuffle_rotate_kernelILj32EfEvPT0_S1_i: ; @_Z21shuffle_rotate_kernelILj32EfEvPT0_S1_i
; %bb.0:
	s_load_dwordx4 s[0:3], s[4:5], 0x0
	s_load_dword s7, s[4:5], 0x10
	v_lshl_or_b32 v1, s6, 5, v0
	v_mov_b32_e32 v2, 0
	v_lshlrev_b64 v[1:2], 2, v[1:2]
	s_waitcnt lgkmcnt(0)
	v_mov_b32_e32 v4, s1
	v_add_co_u32_e32 v3, vcc, s0, v1
	v_addc_co_u32_e32 v4, vcc, v4, v2, vcc
	global_load_dword v3, v[3:4], off
	v_lshlrev_b32_e32 v5, 2, v0
	v_add_u32_e32 v0, s7, v0
	v_lshrrev_b32_e32 v7, 26, v0
	v_not_b32_e32 v4, 31
	v_and_b32_e32 v7, 32, v7
	v_cmp_gt_i32_e32 vcc, 32, v0
	v_cndmask_b32_e32 v0, v4, v7, vcc
	s_lshl_b32 s0, s7, 2
	v_lshlrev_b32_e32 v0, 2, v0
	v_add3_u32 v0, v5, s0, v0
	v_mov_b32_e32 v6, s3
	s_waitcnt vmcnt(0)
	ds_write_b32 v5, v3
	s_waitcnt lgkmcnt(0)
	; wave barrier
	ds_read_b32 v3, v0
	v_add_co_u32_e32 v0, vcc, s2, v1
	v_addc_co_u32_e32 v1, vcc, v6, v2, vcc
	s_waitcnt lgkmcnt(0)
	global_store_dword v[0:1], v3, off
	s_endpgm
	.section	.rodata,"a",@progbits
	.p2align	6, 0x0
	.amdhsa_kernel _Z21shuffle_rotate_kernelILj32EfEvPT0_S1_i
		.amdhsa_group_segment_fixed_size 128
		.amdhsa_private_segment_fixed_size 0
		.amdhsa_kernarg_size 20
		.amdhsa_user_sgpr_count 6
		.amdhsa_user_sgpr_private_segment_buffer 1
		.amdhsa_user_sgpr_dispatch_ptr 0
		.amdhsa_user_sgpr_queue_ptr 0
		.amdhsa_user_sgpr_kernarg_segment_ptr 1
		.amdhsa_user_sgpr_dispatch_id 0
		.amdhsa_user_sgpr_flat_scratch_init 0
		.amdhsa_user_sgpr_private_segment_size 0
		.amdhsa_uses_dynamic_stack 0
		.amdhsa_system_sgpr_private_segment_wavefront_offset 0
		.amdhsa_system_sgpr_workgroup_id_x 1
		.amdhsa_system_sgpr_workgroup_id_y 0
		.amdhsa_system_sgpr_workgroup_id_z 0
		.amdhsa_system_sgpr_workgroup_info 0
		.amdhsa_system_vgpr_workitem_id 0
		.amdhsa_next_free_vgpr 8
		.amdhsa_next_free_sgpr 8
		.amdhsa_reserve_vcc 1
		.amdhsa_reserve_flat_scratch 0
		.amdhsa_float_round_mode_32 0
		.amdhsa_float_round_mode_16_64 0
		.amdhsa_float_denorm_mode_32 3
		.amdhsa_float_denorm_mode_16_64 3
		.amdhsa_dx10_clamp 1
		.amdhsa_ieee_mode 1
		.amdhsa_fp16_overflow 0
		.amdhsa_exception_fp_ieee_invalid_op 0
		.amdhsa_exception_fp_denorm_src 0
		.amdhsa_exception_fp_ieee_div_zero 0
		.amdhsa_exception_fp_ieee_overflow 0
		.amdhsa_exception_fp_ieee_underflow 0
		.amdhsa_exception_fp_ieee_inexact 0
		.amdhsa_exception_int_div_zero 0
	.end_amdhsa_kernel
	.section	.text._Z21shuffle_rotate_kernelILj32EfEvPT0_S1_i,"axG",@progbits,_Z21shuffle_rotate_kernelILj32EfEvPT0_S1_i,comdat
.Lfunc_end19:
	.size	_Z21shuffle_rotate_kernelILj32EfEvPT0_S1_i, .Lfunc_end19-_Z21shuffle_rotate_kernelILj32EfEvPT0_S1_i
                                        ; -- End function
	.set _Z21shuffle_rotate_kernelILj32EfEvPT0_S1_i.num_vgpr, 8
	.set _Z21shuffle_rotate_kernelILj32EfEvPT0_S1_i.num_agpr, 0
	.set _Z21shuffle_rotate_kernelILj32EfEvPT0_S1_i.numbered_sgpr, 8
	.set _Z21shuffle_rotate_kernelILj32EfEvPT0_S1_i.num_named_barrier, 0
	.set _Z21shuffle_rotate_kernelILj32EfEvPT0_S1_i.private_seg_size, 0
	.set _Z21shuffle_rotate_kernelILj32EfEvPT0_S1_i.uses_vcc, 1
	.set _Z21shuffle_rotate_kernelILj32EfEvPT0_S1_i.uses_flat_scratch, 0
	.set _Z21shuffle_rotate_kernelILj32EfEvPT0_S1_i.has_dyn_sized_stack, 0
	.set _Z21shuffle_rotate_kernelILj32EfEvPT0_S1_i.has_recursion, 0
	.set _Z21shuffle_rotate_kernelILj32EfEvPT0_S1_i.has_indirect_call, 0
	.section	.AMDGPU.csdata,"",@progbits
; Kernel info:
; codeLenInByte = 156
; TotalNumSgprs: 12
; NumVgprs: 8
; ScratchSize: 0
; MemoryBound: 0
; FloatMode: 240
; IeeeMode: 1
; LDSByteSize: 128 bytes/workgroup (compile time only)
; SGPRBlocks: 1
; VGPRBlocks: 1
; NumSGPRsForWavesPerEU: 12
; NumVGPRsForWavesPerEU: 8
; Occupancy: 10
; WaveLimiterHint : 0
; COMPUTE_PGM_RSRC2:SCRATCH_EN: 0
; COMPUTE_PGM_RSRC2:USER_SGPR: 6
; COMPUTE_PGM_RSRC2:TRAP_HANDLER: 0
; COMPUTE_PGM_RSRC2:TGID_X_EN: 1
; COMPUTE_PGM_RSRC2:TGID_Y_EN: 0
; COMPUTE_PGM_RSRC2:TGID_Z_EN: 0
; COMPUTE_PGM_RSRC2:TIDIG_COMP_CNT: 0
	.section	.text._Z21shuffle_rotate_kernelILj377ElEvPT0_S1_i,"axG",@progbits,_Z21shuffle_rotate_kernelILj377ElEvPT0_S1_i,comdat
	.protected	_Z21shuffle_rotate_kernelILj377ElEvPT0_S1_i ; -- Begin function _Z21shuffle_rotate_kernelILj377ElEvPT0_S1_i
	.globl	_Z21shuffle_rotate_kernelILj377ElEvPT0_S1_i
	.p2align	8
	.type	_Z21shuffle_rotate_kernelILj377ElEvPT0_S1_i,@function
_Z21shuffle_rotate_kernelILj377ElEvPT0_S1_i: ; @_Z21shuffle_rotate_kernelILj377ElEvPT0_S1_i
; %bb.0:
	s_load_dwordx4 s[0:3], s[4:5], 0x0
	s_load_dword s7, s[4:5], 0x10
	s_mulk_i32 s6, 0x179
	v_add_u32_e32 v1, s6, v0
	v_mov_b32_e32 v2, 0
	v_lshlrev_b64 v[1:2], 3, v[1:2]
	s_waitcnt lgkmcnt(0)
	v_mov_b32_e32 v4, s1
	v_add_co_u32_e32 v3, vcc, s0, v1
	v_addc_co_u32_e32 v4, vcc, v4, v2, vcc
	global_load_dwordx2 v[3:4], v[3:4], off
	v_lshlrev_b32_e32 v5, 3, v0
	v_add_u32_e32 v0, s7, v0
	s_movk_i32 s0, 0x178
	v_add_u32_e32 v8, 0x179, v0
	v_cmp_gt_i32_e32 vcc, 0, v0
	v_add_u32_e32 v7, 0xfffffe87, v0
	v_cndmask_b32_e32 v8, v0, v8, vcc
	v_cmp_lt_i32_e32 vcc, s0, v0
	v_cndmask_b32_e32 v0, v8, v7, vcc
	v_lshlrev_b32_e32 v0, 3, v0
	v_mov_b32_e32 v6, s3
	s_waitcnt vmcnt(0)
	ds_write_b64 v5, v[3:4]
	s_waitcnt lgkmcnt(0)
	s_barrier
	ds_read_b64 v[3:4], v0
	v_add_co_u32_e32 v0, vcc, s2, v1
	v_addc_co_u32_e32 v1, vcc, v6, v2, vcc
	s_waitcnt lgkmcnt(0)
	global_store_dwordx2 v[0:1], v[3:4], off
	s_endpgm
	.section	.rodata,"a",@progbits
	.p2align	6, 0x0
	.amdhsa_kernel _Z21shuffle_rotate_kernelILj377ElEvPT0_S1_i
		.amdhsa_group_segment_fixed_size 3016
		.amdhsa_private_segment_fixed_size 0
		.amdhsa_kernarg_size 20
		.amdhsa_user_sgpr_count 6
		.amdhsa_user_sgpr_private_segment_buffer 1
		.amdhsa_user_sgpr_dispatch_ptr 0
		.amdhsa_user_sgpr_queue_ptr 0
		.amdhsa_user_sgpr_kernarg_segment_ptr 1
		.amdhsa_user_sgpr_dispatch_id 0
		.amdhsa_user_sgpr_flat_scratch_init 0
		.amdhsa_user_sgpr_private_segment_size 0
		.amdhsa_uses_dynamic_stack 0
		.amdhsa_system_sgpr_private_segment_wavefront_offset 0
		.amdhsa_system_sgpr_workgroup_id_x 1
		.amdhsa_system_sgpr_workgroup_id_y 0
		.amdhsa_system_sgpr_workgroup_id_z 0
		.amdhsa_system_sgpr_workgroup_info 0
		.amdhsa_system_vgpr_workitem_id 0
		.amdhsa_next_free_vgpr 25
		.amdhsa_next_free_sgpr 61
		.amdhsa_reserve_vcc 1
		.amdhsa_reserve_flat_scratch 0
		.amdhsa_float_round_mode_32 0
		.amdhsa_float_round_mode_16_64 0
		.amdhsa_float_denorm_mode_32 3
		.amdhsa_float_denorm_mode_16_64 3
		.amdhsa_dx10_clamp 1
		.amdhsa_ieee_mode 1
		.amdhsa_fp16_overflow 0
		.amdhsa_exception_fp_ieee_invalid_op 0
		.amdhsa_exception_fp_denorm_src 0
		.amdhsa_exception_fp_ieee_div_zero 0
		.amdhsa_exception_fp_ieee_overflow 0
		.amdhsa_exception_fp_ieee_underflow 0
		.amdhsa_exception_fp_ieee_inexact 0
		.amdhsa_exception_int_div_zero 0
	.end_amdhsa_kernel
	.section	.text._Z21shuffle_rotate_kernelILj377ElEvPT0_S1_i,"axG",@progbits,_Z21shuffle_rotate_kernelILj377ElEvPT0_S1_i,comdat
.Lfunc_end20:
	.size	_Z21shuffle_rotate_kernelILj377ElEvPT0_S1_i, .Lfunc_end20-_Z21shuffle_rotate_kernelILj377ElEvPT0_S1_i
                                        ; -- End function
	.set _Z21shuffle_rotate_kernelILj377ElEvPT0_S1_i.num_vgpr, 9
	.set _Z21shuffle_rotate_kernelILj377ElEvPT0_S1_i.num_agpr, 0
	.set _Z21shuffle_rotate_kernelILj377ElEvPT0_S1_i.numbered_sgpr, 8
	.set _Z21shuffle_rotate_kernelILj377ElEvPT0_S1_i.num_named_barrier, 0
	.set _Z21shuffle_rotate_kernelILj377ElEvPT0_S1_i.private_seg_size, 0
	.set _Z21shuffle_rotate_kernelILj377ElEvPT0_S1_i.uses_vcc, 1
	.set _Z21shuffle_rotate_kernelILj377ElEvPT0_S1_i.uses_flat_scratch, 0
	.set _Z21shuffle_rotate_kernelILj377ElEvPT0_S1_i.has_dyn_sized_stack, 0
	.set _Z21shuffle_rotate_kernelILj377ElEvPT0_S1_i.has_recursion, 0
	.set _Z21shuffle_rotate_kernelILj377ElEvPT0_S1_i.has_indirect_call, 0
	.section	.AMDGPU.csdata,"",@progbits
; Kernel info:
; codeLenInByte = 164
; TotalNumSgprs: 12
; NumVgprs: 9
; ScratchSize: 0
; MemoryBound: 0
; FloatMode: 240
; IeeeMode: 1
; LDSByteSize: 3016 bytes/workgroup (compile time only)
; SGPRBlocks: 8
; VGPRBlocks: 6
; NumSGPRsForWavesPerEU: 65
; NumVGPRsForWavesPerEU: 25
; Occupancy: 9
; WaveLimiterHint : 0
; COMPUTE_PGM_RSRC2:SCRATCH_EN: 0
; COMPUTE_PGM_RSRC2:USER_SGPR: 6
; COMPUTE_PGM_RSRC2:TRAP_HANDLER: 0
; COMPUTE_PGM_RSRC2:TGID_X_EN: 1
; COMPUTE_PGM_RSRC2:TGID_Y_EN: 0
; COMPUTE_PGM_RSRC2:TGID_Z_EN: 0
; COMPUTE_PGM_RSRC2:TIDIG_COMP_CNT: 0
	.section	.text._Z21shuffle_rotate_kernelILj256ElEvPT0_S1_i,"axG",@progbits,_Z21shuffle_rotate_kernelILj256ElEvPT0_S1_i,comdat
	.protected	_Z21shuffle_rotate_kernelILj256ElEvPT0_S1_i ; -- Begin function _Z21shuffle_rotate_kernelILj256ElEvPT0_S1_i
	.globl	_Z21shuffle_rotate_kernelILj256ElEvPT0_S1_i
	.p2align	8
	.type	_Z21shuffle_rotate_kernelILj256ElEvPT0_S1_i,@function
_Z21shuffle_rotate_kernelILj256ElEvPT0_S1_i: ; @_Z21shuffle_rotate_kernelILj256ElEvPT0_S1_i
; %bb.0:
	s_load_dwordx4 s[0:3], s[4:5], 0x0
	s_load_dword s7, s[4:5], 0x10
	v_lshl_or_b32 v1, s6, 8, v0
	v_mov_b32_e32 v2, 0
	v_lshlrev_b64 v[1:2], 3, v[1:2]
	s_waitcnt lgkmcnt(0)
	v_mov_b32_e32 v4, s1
	v_add_co_u32_e32 v3, vcc, s0, v1
	v_addc_co_u32_e32 v4, vcc, v4, v2, vcc
	global_load_dwordx2 v[3:4], v[3:4], off
	v_lshlrev_b32_e32 v6, 3, v0
	v_add_u32_e32 v0, s7, v0
	s_movk_i32 s0, 0x100
	v_lshrrev_b32_e32 v8, 23, v0
	v_mov_b32_e32 v5, 0xffffff00
	v_and_b32_e32 v8, 0x100, v8
	v_cmp_gt_i32_e32 vcc, s0, v0
	v_cndmask_b32_e32 v0, v5, v8, vcc
	s_lshl_b32 s1, s7, 3
	v_lshlrev_b32_e32 v0, 3, v0
	v_add3_u32 v0, v6, s1, v0
	v_mov_b32_e32 v7, s3
	s_waitcnt vmcnt(0)
	ds_write_b64 v6, v[3:4]
	s_waitcnt lgkmcnt(0)
	s_barrier
	ds_read_b64 v[3:4], v0
	v_add_co_u32_e32 v0, vcc, s2, v1
	v_addc_co_u32_e32 v1, vcc, v7, v2, vcc
	s_waitcnt lgkmcnt(0)
	global_store_dwordx2 v[0:1], v[3:4], off
	s_endpgm
	.section	.rodata,"a",@progbits
	.p2align	6, 0x0
	.amdhsa_kernel _Z21shuffle_rotate_kernelILj256ElEvPT0_S1_i
		.amdhsa_group_segment_fixed_size 2048
		.amdhsa_private_segment_fixed_size 0
		.amdhsa_kernarg_size 20
		.amdhsa_user_sgpr_count 6
		.amdhsa_user_sgpr_private_segment_buffer 1
		.amdhsa_user_sgpr_dispatch_ptr 0
		.amdhsa_user_sgpr_queue_ptr 0
		.amdhsa_user_sgpr_kernarg_segment_ptr 1
		.amdhsa_user_sgpr_dispatch_id 0
		.amdhsa_user_sgpr_flat_scratch_init 0
		.amdhsa_user_sgpr_private_segment_size 0
		.amdhsa_uses_dynamic_stack 0
		.amdhsa_system_sgpr_private_segment_wavefront_offset 0
		.amdhsa_system_sgpr_workgroup_id_x 1
		.amdhsa_system_sgpr_workgroup_id_y 0
		.amdhsa_system_sgpr_workgroup_id_z 0
		.amdhsa_system_sgpr_workgroup_info 0
		.amdhsa_system_vgpr_workitem_id 0
		.amdhsa_next_free_vgpr 9
		.amdhsa_next_free_sgpr 8
		.amdhsa_reserve_vcc 1
		.amdhsa_reserve_flat_scratch 0
		.amdhsa_float_round_mode_32 0
		.amdhsa_float_round_mode_16_64 0
		.amdhsa_float_denorm_mode_32 3
		.amdhsa_float_denorm_mode_16_64 3
		.amdhsa_dx10_clamp 1
		.amdhsa_ieee_mode 1
		.amdhsa_fp16_overflow 0
		.amdhsa_exception_fp_ieee_invalid_op 0
		.amdhsa_exception_fp_denorm_src 0
		.amdhsa_exception_fp_ieee_div_zero 0
		.amdhsa_exception_fp_ieee_overflow 0
		.amdhsa_exception_fp_ieee_underflow 0
		.amdhsa_exception_fp_ieee_inexact 0
		.amdhsa_exception_int_div_zero 0
	.end_amdhsa_kernel
	.section	.text._Z21shuffle_rotate_kernelILj256ElEvPT0_S1_i,"axG",@progbits,_Z21shuffle_rotate_kernelILj256ElEvPT0_S1_i,comdat
.Lfunc_end21:
	.size	_Z21shuffle_rotate_kernelILj256ElEvPT0_S1_i, .Lfunc_end21-_Z21shuffle_rotate_kernelILj256ElEvPT0_S1_i
                                        ; -- End function
	.set _Z21shuffle_rotate_kernelILj256ElEvPT0_S1_i.num_vgpr, 9
	.set _Z21shuffle_rotate_kernelILj256ElEvPT0_S1_i.num_agpr, 0
	.set _Z21shuffle_rotate_kernelILj256ElEvPT0_S1_i.numbered_sgpr, 8
	.set _Z21shuffle_rotate_kernelILj256ElEvPT0_S1_i.num_named_barrier, 0
	.set _Z21shuffle_rotate_kernelILj256ElEvPT0_S1_i.private_seg_size, 0
	.set _Z21shuffle_rotate_kernelILj256ElEvPT0_S1_i.uses_vcc, 1
	.set _Z21shuffle_rotate_kernelILj256ElEvPT0_S1_i.uses_flat_scratch, 0
	.set _Z21shuffle_rotate_kernelILj256ElEvPT0_S1_i.has_dyn_sized_stack, 0
	.set _Z21shuffle_rotate_kernelILj256ElEvPT0_S1_i.has_recursion, 0
	.set _Z21shuffle_rotate_kernelILj256ElEvPT0_S1_i.has_indirect_call, 0
	.section	.AMDGPU.csdata,"",@progbits
; Kernel info:
; codeLenInByte = 172
; TotalNumSgprs: 12
; NumVgprs: 9
; ScratchSize: 0
; MemoryBound: 0
; FloatMode: 240
; IeeeMode: 1
; LDSByteSize: 2048 bytes/workgroup (compile time only)
; SGPRBlocks: 1
; VGPRBlocks: 2
; NumSGPRsForWavesPerEU: 12
; NumVGPRsForWavesPerEU: 9
; Occupancy: 10
; WaveLimiterHint : 0
; COMPUTE_PGM_RSRC2:SCRATCH_EN: 0
; COMPUTE_PGM_RSRC2:USER_SGPR: 6
; COMPUTE_PGM_RSRC2:TRAP_HANDLER: 0
; COMPUTE_PGM_RSRC2:TGID_X_EN: 1
; COMPUTE_PGM_RSRC2:TGID_Y_EN: 0
; COMPUTE_PGM_RSRC2:TGID_Z_EN: 0
; COMPUTE_PGM_RSRC2:TIDIG_COMP_CNT: 0
	.section	.text._Z21shuffle_rotate_kernelILj64ElEvPT0_S1_i,"axG",@progbits,_Z21shuffle_rotate_kernelILj64ElEvPT0_S1_i,comdat
	.protected	_Z21shuffle_rotate_kernelILj64ElEvPT0_S1_i ; -- Begin function _Z21shuffle_rotate_kernelILj64ElEvPT0_S1_i
	.globl	_Z21shuffle_rotate_kernelILj64ElEvPT0_S1_i
	.p2align	8
	.type	_Z21shuffle_rotate_kernelILj64ElEvPT0_S1_i,@function
_Z21shuffle_rotate_kernelILj64ElEvPT0_S1_i: ; @_Z21shuffle_rotate_kernelILj64ElEvPT0_S1_i
; %bb.0:
	s_load_dwordx4 s[0:3], s[4:5], 0x0
	s_load_dword s7, s[4:5], 0x10
	v_lshl_or_b32 v1, s6, 6, v0
	v_mov_b32_e32 v2, 0
	v_lshlrev_b64 v[1:2], 3, v[1:2]
	s_waitcnt lgkmcnt(0)
	v_mov_b32_e32 v4, s1
	v_add_co_u32_e32 v3, vcc, s0, v1
	v_addc_co_u32_e32 v4, vcc, v4, v2, vcc
	global_load_dwordx2 v[3:4], v[3:4], off
	v_lshlrev_b32_e32 v6, 3, v0
	v_add_u32_e32 v0, s7, v0
	v_lshrrev_b32_e32 v8, 25, v0
	v_not_b32_e32 v5, 63
	v_and_b32_e32 v8, 64, v8
	v_cmp_gt_i32_e32 vcc, 64, v0
	v_cndmask_b32_e32 v0, v5, v8, vcc
	s_lshl_b32 s0, s7, 3
	v_lshlrev_b32_e32 v0, 3, v0
	v_add3_u32 v0, v6, s0, v0
	v_mov_b32_e32 v7, s3
	s_waitcnt vmcnt(0)
	ds_write_b64 v6, v[3:4]
	s_waitcnt lgkmcnt(0)
	; wave barrier
	ds_read_b64 v[3:4], v0
	v_add_co_u32_e32 v0, vcc, s2, v1
	v_addc_co_u32_e32 v1, vcc, v7, v2, vcc
	s_waitcnt lgkmcnt(0)
	global_store_dwordx2 v[0:1], v[3:4], off
	s_endpgm
	.section	.rodata,"a",@progbits
	.p2align	6, 0x0
	.amdhsa_kernel _Z21shuffle_rotate_kernelILj64ElEvPT0_S1_i
		.amdhsa_group_segment_fixed_size 512
		.amdhsa_private_segment_fixed_size 0
		.amdhsa_kernarg_size 20
		.amdhsa_user_sgpr_count 6
		.amdhsa_user_sgpr_private_segment_buffer 1
		.amdhsa_user_sgpr_dispatch_ptr 0
		.amdhsa_user_sgpr_queue_ptr 0
		.amdhsa_user_sgpr_kernarg_segment_ptr 1
		.amdhsa_user_sgpr_dispatch_id 0
		.amdhsa_user_sgpr_flat_scratch_init 0
		.amdhsa_user_sgpr_private_segment_size 0
		.amdhsa_uses_dynamic_stack 0
		.amdhsa_system_sgpr_private_segment_wavefront_offset 0
		.amdhsa_system_sgpr_workgroup_id_x 1
		.amdhsa_system_sgpr_workgroup_id_y 0
		.amdhsa_system_sgpr_workgroup_id_z 0
		.amdhsa_system_sgpr_workgroup_info 0
		.amdhsa_system_vgpr_workitem_id 0
		.amdhsa_next_free_vgpr 9
		.amdhsa_next_free_sgpr 8
		.amdhsa_reserve_vcc 1
		.amdhsa_reserve_flat_scratch 0
		.amdhsa_float_round_mode_32 0
		.amdhsa_float_round_mode_16_64 0
		.amdhsa_float_denorm_mode_32 3
		.amdhsa_float_denorm_mode_16_64 3
		.amdhsa_dx10_clamp 1
		.amdhsa_ieee_mode 1
		.amdhsa_fp16_overflow 0
		.amdhsa_exception_fp_ieee_invalid_op 0
		.amdhsa_exception_fp_denorm_src 0
		.amdhsa_exception_fp_ieee_div_zero 0
		.amdhsa_exception_fp_ieee_overflow 0
		.amdhsa_exception_fp_ieee_underflow 0
		.amdhsa_exception_fp_ieee_inexact 0
		.amdhsa_exception_int_div_zero 0
	.end_amdhsa_kernel
	.section	.text._Z21shuffle_rotate_kernelILj64ElEvPT0_S1_i,"axG",@progbits,_Z21shuffle_rotate_kernelILj64ElEvPT0_S1_i,comdat
.Lfunc_end22:
	.size	_Z21shuffle_rotate_kernelILj64ElEvPT0_S1_i, .Lfunc_end22-_Z21shuffle_rotate_kernelILj64ElEvPT0_S1_i
                                        ; -- End function
	.set _Z21shuffle_rotate_kernelILj64ElEvPT0_S1_i.num_vgpr, 9
	.set _Z21shuffle_rotate_kernelILj64ElEvPT0_S1_i.num_agpr, 0
	.set _Z21shuffle_rotate_kernelILj64ElEvPT0_S1_i.numbered_sgpr, 8
	.set _Z21shuffle_rotate_kernelILj64ElEvPT0_S1_i.num_named_barrier, 0
	.set _Z21shuffle_rotate_kernelILj64ElEvPT0_S1_i.private_seg_size, 0
	.set _Z21shuffle_rotate_kernelILj64ElEvPT0_S1_i.uses_vcc, 1
	.set _Z21shuffle_rotate_kernelILj64ElEvPT0_S1_i.uses_flat_scratch, 0
	.set _Z21shuffle_rotate_kernelILj64ElEvPT0_S1_i.has_dyn_sized_stack, 0
	.set _Z21shuffle_rotate_kernelILj64ElEvPT0_S1_i.has_recursion, 0
	.set _Z21shuffle_rotate_kernelILj64ElEvPT0_S1_i.has_indirect_call, 0
	.section	.AMDGPU.csdata,"",@progbits
; Kernel info:
; codeLenInByte = 156
; TotalNumSgprs: 12
; NumVgprs: 9
; ScratchSize: 0
; MemoryBound: 0
; FloatMode: 240
; IeeeMode: 1
; LDSByteSize: 512 bytes/workgroup (compile time only)
; SGPRBlocks: 1
; VGPRBlocks: 2
; NumSGPRsForWavesPerEU: 12
; NumVGPRsForWavesPerEU: 9
; Occupancy: 10
; WaveLimiterHint : 0
; COMPUTE_PGM_RSRC2:SCRATCH_EN: 0
; COMPUTE_PGM_RSRC2:USER_SGPR: 6
; COMPUTE_PGM_RSRC2:TRAP_HANDLER: 0
; COMPUTE_PGM_RSRC2:TGID_X_EN: 1
; COMPUTE_PGM_RSRC2:TGID_Y_EN: 0
; COMPUTE_PGM_RSRC2:TGID_Z_EN: 0
; COMPUTE_PGM_RSRC2:TIDIG_COMP_CNT: 0
	.section	.text._Z21shuffle_rotate_kernelILj377EjEvPT0_S1_i,"axG",@progbits,_Z21shuffle_rotate_kernelILj377EjEvPT0_S1_i,comdat
	.protected	_Z21shuffle_rotate_kernelILj377EjEvPT0_S1_i ; -- Begin function _Z21shuffle_rotate_kernelILj377EjEvPT0_S1_i
	.globl	_Z21shuffle_rotate_kernelILj377EjEvPT0_S1_i
	.p2align	8
	.type	_Z21shuffle_rotate_kernelILj377EjEvPT0_S1_i,@function
_Z21shuffle_rotate_kernelILj377EjEvPT0_S1_i: ; @_Z21shuffle_rotate_kernelILj377EjEvPT0_S1_i
; %bb.0:
	s_load_dwordx4 s[0:3], s[4:5], 0x0
	s_load_dword s7, s[4:5], 0x10
	s_mulk_i32 s6, 0x179
	v_add_u32_e32 v1, s6, v0
	v_mov_b32_e32 v2, 0
	v_lshlrev_b64 v[1:2], 2, v[1:2]
	s_waitcnt lgkmcnt(0)
	v_mov_b32_e32 v4, s1
	v_add_co_u32_e32 v3, vcc, s0, v1
	v_addc_co_u32_e32 v4, vcc, v4, v2, vcc
	global_load_dword v3, v[3:4], off
	v_lshlrev_b32_e32 v4, 2, v0
	v_add_u32_e32 v0, s7, v0
	s_movk_i32 s0, 0x178
	v_add_u32_e32 v7, 0x179, v0
	v_cmp_gt_i32_e32 vcc, 0, v0
	v_add_u32_e32 v6, 0xfffffe87, v0
	v_cndmask_b32_e32 v7, v0, v7, vcc
	v_cmp_lt_i32_e32 vcc, s0, v0
	v_cndmask_b32_e32 v0, v7, v6, vcc
	v_lshlrev_b32_e32 v0, 2, v0
	v_mov_b32_e32 v5, s3
	s_waitcnt vmcnt(0)
	ds_write_b32 v4, v3
	s_waitcnt lgkmcnt(0)
	s_barrier
	ds_read_b32 v3, v0
	v_add_co_u32_e32 v0, vcc, s2, v1
	v_addc_co_u32_e32 v1, vcc, v5, v2, vcc
	s_waitcnt lgkmcnt(0)
	global_store_dword v[0:1], v3, off
	s_endpgm
	.section	.rodata,"a",@progbits
	.p2align	6, 0x0
	.amdhsa_kernel _Z21shuffle_rotate_kernelILj377EjEvPT0_S1_i
		.amdhsa_group_segment_fixed_size 1508
		.amdhsa_private_segment_fixed_size 0
		.amdhsa_kernarg_size 20
		.amdhsa_user_sgpr_count 6
		.amdhsa_user_sgpr_private_segment_buffer 1
		.amdhsa_user_sgpr_dispatch_ptr 0
		.amdhsa_user_sgpr_queue_ptr 0
		.amdhsa_user_sgpr_kernarg_segment_ptr 1
		.amdhsa_user_sgpr_dispatch_id 0
		.amdhsa_user_sgpr_flat_scratch_init 0
		.amdhsa_user_sgpr_private_segment_size 0
		.amdhsa_uses_dynamic_stack 0
		.amdhsa_system_sgpr_private_segment_wavefront_offset 0
		.amdhsa_system_sgpr_workgroup_id_x 1
		.amdhsa_system_sgpr_workgroup_id_y 0
		.amdhsa_system_sgpr_workgroup_id_z 0
		.amdhsa_system_sgpr_workgroup_info 0
		.amdhsa_system_vgpr_workitem_id 0
		.amdhsa_next_free_vgpr 8
		.amdhsa_next_free_sgpr 8
		.amdhsa_reserve_vcc 1
		.amdhsa_reserve_flat_scratch 0
		.amdhsa_float_round_mode_32 0
		.amdhsa_float_round_mode_16_64 0
		.amdhsa_float_denorm_mode_32 3
		.amdhsa_float_denorm_mode_16_64 3
		.amdhsa_dx10_clamp 1
		.amdhsa_ieee_mode 1
		.amdhsa_fp16_overflow 0
		.amdhsa_exception_fp_ieee_invalid_op 0
		.amdhsa_exception_fp_denorm_src 0
		.amdhsa_exception_fp_ieee_div_zero 0
		.amdhsa_exception_fp_ieee_overflow 0
		.amdhsa_exception_fp_ieee_underflow 0
		.amdhsa_exception_fp_ieee_inexact 0
		.amdhsa_exception_int_div_zero 0
	.end_amdhsa_kernel
	.section	.text._Z21shuffle_rotate_kernelILj377EjEvPT0_S1_i,"axG",@progbits,_Z21shuffle_rotate_kernelILj377EjEvPT0_S1_i,comdat
.Lfunc_end23:
	.size	_Z21shuffle_rotate_kernelILj377EjEvPT0_S1_i, .Lfunc_end23-_Z21shuffle_rotate_kernelILj377EjEvPT0_S1_i
                                        ; -- End function
	.set _Z21shuffle_rotate_kernelILj377EjEvPT0_S1_i.num_vgpr, 8
	.set _Z21shuffle_rotate_kernelILj377EjEvPT0_S1_i.num_agpr, 0
	.set _Z21shuffle_rotate_kernelILj377EjEvPT0_S1_i.numbered_sgpr, 8
	.set _Z21shuffle_rotate_kernelILj377EjEvPT0_S1_i.num_named_barrier, 0
	.set _Z21shuffle_rotate_kernelILj377EjEvPT0_S1_i.private_seg_size, 0
	.set _Z21shuffle_rotate_kernelILj377EjEvPT0_S1_i.uses_vcc, 1
	.set _Z21shuffle_rotate_kernelILj377EjEvPT0_S1_i.uses_flat_scratch, 0
	.set _Z21shuffle_rotate_kernelILj377EjEvPT0_S1_i.has_dyn_sized_stack, 0
	.set _Z21shuffle_rotate_kernelILj377EjEvPT0_S1_i.has_recursion, 0
	.set _Z21shuffle_rotate_kernelILj377EjEvPT0_S1_i.has_indirect_call, 0
	.section	.AMDGPU.csdata,"",@progbits
; Kernel info:
; codeLenInByte = 164
; TotalNumSgprs: 12
; NumVgprs: 8
; ScratchSize: 0
; MemoryBound: 0
; FloatMode: 240
; IeeeMode: 1
; LDSByteSize: 1508 bytes/workgroup (compile time only)
; SGPRBlocks: 1
; VGPRBlocks: 1
; NumSGPRsForWavesPerEU: 12
; NumVGPRsForWavesPerEU: 8
; Occupancy: 10
; WaveLimiterHint : 0
; COMPUTE_PGM_RSRC2:SCRATCH_EN: 0
; COMPUTE_PGM_RSRC2:USER_SGPR: 6
; COMPUTE_PGM_RSRC2:TRAP_HANDLER: 0
; COMPUTE_PGM_RSRC2:TGID_X_EN: 1
; COMPUTE_PGM_RSRC2:TGID_Y_EN: 0
; COMPUTE_PGM_RSRC2:TGID_Z_EN: 0
; COMPUTE_PGM_RSRC2:TIDIG_COMP_CNT: 0
	.section	.text._Z21shuffle_rotate_kernelILj256EjEvPT0_S1_i,"axG",@progbits,_Z21shuffle_rotate_kernelILj256EjEvPT0_S1_i,comdat
	.protected	_Z21shuffle_rotate_kernelILj256EjEvPT0_S1_i ; -- Begin function _Z21shuffle_rotate_kernelILj256EjEvPT0_S1_i
	.globl	_Z21shuffle_rotate_kernelILj256EjEvPT0_S1_i
	.p2align	8
	.type	_Z21shuffle_rotate_kernelILj256EjEvPT0_S1_i,@function
_Z21shuffle_rotate_kernelILj256EjEvPT0_S1_i: ; @_Z21shuffle_rotate_kernelILj256EjEvPT0_S1_i
; %bb.0:
	s_load_dwordx4 s[0:3], s[4:5], 0x0
	s_load_dword s7, s[4:5], 0x10
	v_lshl_or_b32 v1, s6, 8, v0
	v_mov_b32_e32 v2, 0
	v_lshlrev_b64 v[1:2], 2, v[1:2]
	s_waitcnt lgkmcnt(0)
	v_mov_b32_e32 v4, s1
	v_add_co_u32_e32 v3, vcc, s0, v1
	v_addc_co_u32_e32 v4, vcc, v4, v2, vcc
	global_load_dword v3, v[3:4], off
	v_lshlrev_b32_e32 v5, 2, v0
	v_add_u32_e32 v0, s7, v0
	s_movk_i32 s0, 0x100
	v_lshrrev_b32_e32 v7, 23, v0
	v_mov_b32_e32 v4, 0xffffff00
	v_and_b32_e32 v7, 0x100, v7
	v_cmp_gt_i32_e32 vcc, s0, v0
	v_cndmask_b32_e32 v0, v4, v7, vcc
	s_lshl_b32 s1, s7, 2
	v_lshlrev_b32_e32 v0, 2, v0
	v_add3_u32 v0, v5, s1, v0
	v_mov_b32_e32 v6, s3
	s_waitcnt vmcnt(0)
	ds_write_b32 v5, v3
	s_waitcnt lgkmcnt(0)
	s_barrier
	ds_read_b32 v3, v0
	v_add_co_u32_e32 v0, vcc, s2, v1
	v_addc_co_u32_e32 v1, vcc, v6, v2, vcc
	s_waitcnt lgkmcnt(0)
	global_store_dword v[0:1], v3, off
	s_endpgm
	.section	.rodata,"a",@progbits
	.p2align	6, 0x0
	.amdhsa_kernel _Z21shuffle_rotate_kernelILj256EjEvPT0_S1_i
		.amdhsa_group_segment_fixed_size 1024
		.amdhsa_private_segment_fixed_size 0
		.amdhsa_kernarg_size 20
		.amdhsa_user_sgpr_count 6
		.amdhsa_user_sgpr_private_segment_buffer 1
		.amdhsa_user_sgpr_dispatch_ptr 0
		.amdhsa_user_sgpr_queue_ptr 0
		.amdhsa_user_sgpr_kernarg_segment_ptr 1
		.amdhsa_user_sgpr_dispatch_id 0
		.amdhsa_user_sgpr_flat_scratch_init 0
		.amdhsa_user_sgpr_private_segment_size 0
		.amdhsa_uses_dynamic_stack 0
		.amdhsa_system_sgpr_private_segment_wavefront_offset 0
		.amdhsa_system_sgpr_workgroup_id_x 1
		.amdhsa_system_sgpr_workgroup_id_y 0
		.amdhsa_system_sgpr_workgroup_id_z 0
		.amdhsa_system_sgpr_workgroup_info 0
		.amdhsa_system_vgpr_workitem_id 0
		.amdhsa_next_free_vgpr 8
		.amdhsa_next_free_sgpr 8
		.amdhsa_reserve_vcc 1
		.amdhsa_reserve_flat_scratch 0
		.amdhsa_float_round_mode_32 0
		.amdhsa_float_round_mode_16_64 0
		.amdhsa_float_denorm_mode_32 3
		.amdhsa_float_denorm_mode_16_64 3
		.amdhsa_dx10_clamp 1
		.amdhsa_ieee_mode 1
		.amdhsa_fp16_overflow 0
		.amdhsa_exception_fp_ieee_invalid_op 0
		.amdhsa_exception_fp_denorm_src 0
		.amdhsa_exception_fp_ieee_div_zero 0
		.amdhsa_exception_fp_ieee_overflow 0
		.amdhsa_exception_fp_ieee_underflow 0
		.amdhsa_exception_fp_ieee_inexact 0
		.amdhsa_exception_int_div_zero 0
	.end_amdhsa_kernel
	.section	.text._Z21shuffle_rotate_kernelILj256EjEvPT0_S1_i,"axG",@progbits,_Z21shuffle_rotate_kernelILj256EjEvPT0_S1_i,comdat
.Lfunc_end24:
	.size	_Z21shuffle_rotate_kernelILj256EjEvPT0_S1_i, .Lfunc_end24-_Z21shuffle_rotate_kernelILj256EjEvPT0_S1_i
                                        ; -- End function
	.set _Z21shuffle_rotate_kernelILj256EjEvPT0_S1_i.num_vgpr, 8
	.set _Z21shuffle_rotate_kernelILj256EjEvPT0_S1_i.num_agpr, 0
	.set _Z21shuffle_rotate_kernelILj256EjEvPT0_S1_i.numbered_sgpr, 8
	.set _Z21shuffle_rotate_kernelILj256EjEvPT0_S1_i.num_named_barrier, 0
	.set _Z21shuffle_rotate_kernelILj256EjEvPT0_S1_i.private_seg_size, 0
	.set _Z21shuffle_rotate_kernelILj256EjEvPT0_S1_i.uses_vcc, 1
	.set _Z21shuffle_rotate_kernelILj256EjEvPT0_S1_i.uses_flat_scratch, 0
	.set _Z21shuffle_rotate_kernelILj256EjEvPT0_S1_i.has_dyn_sized_stack, 0
	.set _Z21shuffle_rotate_kernelILj256EjEvPT0_S1_i.has_recursion, 0
	.set _Z21shuffle_rotate_kernelILj256EjEvPT0_S1_i.has_indirect_call, 0
	.section	.AMDGPU.csdata,"",@progbits
; Kernel info:
; codeLenInByte = 172
; TotalNumSgprs: 12
; NumVgprs: 8
; ScratchSize: 0
; MemoryBound: 0
; FloatMode: 240
; IeeeMode: 1
; LDSByteSize: 1024 bytes/workgroup (compile time only)
; SGPRBlocks: 1
; VGPRBlocks: 1
; NumSGPRsForWavesPerEU: 12
; NumVGPRsForWavesPerEU: 8
; Occupancy: 10
; WaveLimiterHint : 0
; COMPUTE_PGM_RSRC2:SCRATCH_EN: 0
; COMPUTE_PGM_RSRC2:USER_SGPR: 6
; COMPUTE_PGM_RSRC2:TRAP_HANDLER: 0
; COMPUTE_PGM_RSRC2:TGID_X_EN: 1
; COMPUTE_PGM_RSRC2:TGID_Y_EN: 0
; COMPUTE_PGM_RSRC2:TGID_Z_EN: 0
; COMPUTE_PGM_RSRC2:TIDIG_COMP_CNT: 0
	.section	.text._Z21shuffle_rotate_kernelILj64EjEvPT0_S1_i,"axG",@progbits,_Z21shuffle_rotate_kernelILj64EjEvPT0_S1_i,comdat
	.protected	_Z21shuffle_rotate_kernelILj64EjEvPT0_S1_i ; -- Begin function _Z21shuffle_rotate_kernelILj64EjEvPT0_S1_i
	.globl	_Z21shuffle_rotate_kernelILj64EjEvPT0_S1_i
	.p2align	8
	.type	_Z21shuffle_rotate_kernelILj64EjEvPT0_S1_i,@function
_Z21shuffle_rotate_kernelILj64EjEvPT0_S1_i: ; @_Z21shuffle_rotate_kernelILj64EjEvPT0_S1_i
; %bb.0:
	s_load_dwordx4 s[0:3], s[4:5], 0x0
	s_load_dword s7, s[4:5], 0x10
	v_lshl_or_b32 v1, s6, 6, v0
	v_mov_b32_e32 v2, 0
	v_lshlrev_b64 v[1:2], 2, v[1:2]
	s_waitcnt lgkmcnt(0)
	v_mov_b32_e32 v4, s1
	v_add_co_u32_e32 v3, vcc, s0, v1
	v_addc_co_u32_e32 v4, vcc, v4, v2, vcc
	global_load_dword v3, v[3:4], off
	v_lshlrev_b32_e32 v5, 2, v0
	v_add_u32_e32 v0, s7, v0
	v_lshrrev_b32_e32 v7, 25, v0
	v_not_b32_e32 v4, 63
	v_and_b32_e32 v7, 64, v7
	v_cmp_gt_i32_e32 vcc, 64, v0
	v_cndmask_b32_e32 v0, v4, v7, vcc
	s_lshl_b32 s0, s7, 2
	v_lshlrev_b32_e32 v0, 2, v0
	v_add3_u32 v0, v5, s0, v0
	v_mov_b32_e32 v6, s3
	s_waitcnt vmcnt(0)
	ds_write_b32 v5, v3
	s_waitcnt lgkmcnt(0)
	; wave barrier
	ds_read_b32 v3, v0
	v_add_co_u32_e32 v0, vcc, s2, v1
	v_addc_co_u32_e32 v1, vcc, v6, v2, vcc
	s_waitcnt lgkmcnt(0)
	global_store_dword v[0:1], v3, off
	s_endpgm
	.section	.rodata,"a",@progbits
	.p2align	6, 0x0
	.amdhsa_kernel _Z21shuffle_rotate_kernelILj64EjEvPT0_S1_i
		.amdhsa_group_segment_fixed_size 256
		.amdhsa_private_segment_fixed_size 0
		.amdhsa_kernarg_size 20
		.amdhsa_user_sgpr_count 6
		.amdhsa_user_sgpr_private_segment_buffer 1
		.amdhsa_user_sgpr_dispatch_ptr 0
		.amdhsa_user_sgpr_queue_ptr 0
		.amdhsa_user_sgpr_kernarg_segment_ptr 1
		.amdhsa_user_sgpr_dispatch_id 0
		.amdhsa_user_sgpr_flat_scratch_init 0
		.amdhsa_user_sgpr_private_segment_size 0
		.amdhsa_uses_dynamic_stack 0
		.amdhsa_system_sgpr_private_segment_wavefront_offset 0
		.amdhsa_system_sgpr_workgroup_id_x 1
		.amdhsa_system_sgpr_workgroup_id_y 0
		.amdhsa_system_sgpr_workgroup_id_z 0
		.amdhsa_system_sgpr_workgroup_info 0
		.amdhsa_system_vgpr_workitem_id 0
		.amdhsa_next_free_vgpr 8
		.amdhsa_next_free_sgpr 8
		.amdhsa_reserve_vcc 1
		.amdhsa_reserve_flat_scratch 0
		.amdhsa_float_round_mode_32 0
		.amdhsa_float_round_mode_16_64 0
		.amdhsa_float_denorm_mode_32 3
		.amdhsa_float_denorm_mode_16_64 3
		.amdhsa_dx10_clamp 1
		.amdhsa_ieee_mode 1
		.amdhsa_fp16_overflow 0
		.amdhsa_exception_fp_ieee_invalid_op 0
		.amdhsa_exception_fp_denorm_src 0
		.amdhsa_exception_fp_ieee_div_zero 0
		.amdhsa_exception_fp_ieee_overflow 0
		.amdhsa_exception_fp_ieee_underflow 0
		.amdhsa_exception_fp_ieee_inexact 0
		.amdhsa_exception_int_div_zero 0
	.end_amdhsa_kernel
	.section	.text._Z21shuffle_rotate_kernelILj64EjEvPT0_S1_i,"axG",@progbits,_Z21shuffle_rotate_kernelILj64EjEvPT0_S1_i,comdat
.Lfunc_end25:
	.size	_Z21shuffle_rotate_kernelILj64EjEvPT0_S1_i, .Lfunc_end25-_Z21shuffle_rotate_kernelILj64EjEvPT0_S1_i
                                        ; -- End function
	.set _Z21shuffle_rotate_kernelILj64EjEvPT0_S1_i.num_vgpr, 8
	.set _Z21shuffle_rotate_kernelILj64EjEvPT0_S1_i.num_agpr, 0
	.set _Z21shuffle_rotate_kernelILj64EjEvPT0_S1_i.numbered_sgpr, 8
	.set _Z21shuffle_rotate_kernelILj64EjEvPT0_S1_i.num_named_barrier, 0
	.set _Z21shuffle_rotate_kernelILj64EjEvPT0_S1_i.private_seg_size, 0
	.set _Z21shuffle_rotate_kernelILj64EjEvPT0_S1_i.uses_vcc, 1
	.set _Z21shuffle_rotate_kernelILj64EjEvPT0_S1_i.uses_flat_scratch, 0
	.set _Z21shuffle_rotate_kernelILj64EjEvPT0_S1_i.has_dyn_sized_stack, 0
	.set _Z21shuffle_rotate_kernelILj64EjEvPT0_S1_i.has_recursion, 0
	.set _Z21shuffle_rotate_kernelILj64EjEvPT0_S1_i.has_indirect_call, 0
	.section	.AMDGPU.csdata,"",@progbits
; Kernel info:
; codeLenInByte = 156
; TotalNumSgprs: 12
; NumVgprs: 8
; ScratchSize: 0
; MemoryBound: 0
; FloatMode: 240
; IeeeMode: 1
; LDSByteSize: 256 bytes/workgroup (compile time only)
; SGPRBlocks: 1
; VGPRBlocks: 1
; NumSGPRsForWavesPerEU: 12
; NumVGPRsForWavesPerEU: 8
; Occupancy: 10
; WaveLimiterHint : 0
; COMPUTE_PGM_RSRC2:SCRATCH_EN: 0
; COMPUTE_PGM_RSRC2:USER_SGPR: 6
; COMPUTE_PGM_RSRC2:TRAP_HANDLER: 0
; COMPUTE_PGM_RSRC2:TGID_X_EN: 1
; COMPUTE_PGM_RSRC2:TGID_Y_EN: 0
; COMPUTE_PGM_RSRC2:TGID_Z_EN: 0
; COMPUTE_PGM_RSRC2:TIDIG_COMP_CNT: 0
	.section	.text._Z21shuffle_rotate_kernelILj255EiEvPT0_S1_i,"axG",@progbits,_Z21shuffle_rotate_kernelILj255EiEvPT0_S1_i,comdat
	.protected	_Z21shuffle_rotate_kernelILj255EiEvPT0_S1_i ; -- Begin function _Z21shuffle_rotate_kernelILj255EiEvPT0_S1_i
	.globl	_Z21shuffle_rotate_kernelILj255EiEvPT0_S1_i
	.p2align	8
	.type	_Z21shuffle_rotate_kernelILj255EiEvPT0_S1_i,@function
_Z21shuffle_rotate_kernelILj255EiEvPT0_S1_i: ; @_Z21shuffle_rotate_kernelILj255EiEvPT0_S1_i
; %bb.0:
	s_load_dwordx4 s[0:3], s[4:5], 0x0
	s_load_dword s7, s[4:5], 0x10
	s_mulk_i32 s6, 0xff
	v_add_u32_e32 v1, s6, v0
	v_mov_b32_e32 v2, 0
	v_lshlrev_b64 v[1:2], 2, v[1:2]
	s_waitcnt lgkmcnt(0)
	v_mov_b32_e32 v4, s1
	v_add_co_u32_e32 v3, vcc, s0, v1
	v_addc_co_u32_e32 v4, vcc, v4, v2, vcc
	global_load_dword v3, v[3:4], off
	v_lshlrev_b32_e32 v4, 2, v0
	v_add_u32_e32 v0, s7, v0
	s_movk_i32 s0, 0xfe
	v_add_u32_e32 v7, 0xff, v0
	v_cmp_gt_i32_e32 vcc, 0, v0
	v_add_u32_e32 v6, 0xffffff01, v0
	v_cndmask_b32_e32 v7, v0, v7, vcc
	v_cmp_lt_i32_e32 vcc, s0, v0
	v_cndmask_b32_e32 v0, v7, v6, vcc
	v_lshlrev_b32_e32 v0, 2, v0
	v_mov_b32_e32 v5, s3
	s_waitcnt vmcnt(0)
	ds_write_b32 v4, v3
	s_waitcnt lgkmcnt(0)
	s_barrier
	ds_read_b32 v3, v0
	v_add_co_u32_e32 v0, vcc, s2, v1
	v_addc_co_u32_e32 v1, vcc, v5, v2, vcc
	s_waitcnt lgkmcnt(0)
	global_store_dword v[0:1], v3, off
	s_endpgm
	.section	.rodata,"a",@progbits
	.p2align	6, 0x0
	.amdhsa_kernel _Z21shuffle_rotate_kernelILj255EiEvPT0_S1_i
		.amdhsa_group_segment_fixed_size 1020
		.amdhsa_private_segment_fixed_size 0
		.amdhsa_kernarg_size 20
		.amdhsa_user_sgpr_count 6
		.amdhsa_user_sgpr_private_segment_buffer 1
		.amdhsa_user_sgpr_dispatch_ptr 0
		.amdhsa_user_sgpr_queue_ptr 0
		.amdhsa_user_sgpr_kernarg_segment_ptr 1
		.amdhsa_user_sgpr_dispatch_id 0
		.amdhsa_user_sgpr_flat_scratch_init 0
		.amdhsa_user_sgpr_private_segment_size 0
		.amdhsa_uses_dynamic_stack 0
		.amdhsa_system_sgpr_private_segment_wavefront_offset 0
		.amdhsa_system_sgpr_workgroup_id_x 1
		.amdhsa_system_sgpr_workgroup_id_y 0
		.amdhsa_system_sgpr_workgroup_id_z 0
		.amdhsa_system_sgpr_workgroup_info 0
		.amdhsa_system_vgpr_workitem_id 0
		.amdhsa_next_free_vgpr 8
		.amdhsa_next_free_sgpr 8
		.amdhsa_reserve_vcc 1
		.amdhsa_reserve_flat_scratch 0
		.amdhsa_float_round_mode_32 0
		.amdhsa_float_round_mode_16_64 0
		.amdhsa_float_denorm_mode_32 3
		.amdhsa_float_denorm_mode_16_64 3
		.amdhsa_dx10_clamp 1
		.amdhsa_ieee_mode 1
		.amdhsa_fp16_overflow 0
		.amdhsa_exception_fp_ieee_invalid_op 0
		.amdhsa_exception_fp_denorm_src 0
		.amdhsa_exception_fp_ieee_div_zero 0
		.amdhsa_exception_fp_ieee_overflow 0
		.amdhsa_exception_fp_ieee_underflow 0
		.amdhsa_exception_fp_ieee_inexact 0
		.amdhsa_exception_int_div_zero 0
	.end_amdhsa_kernel
	.section	.text._Z21shuffle_rotate_kernelILj255EiEvPT0_S1_i,"axG",@progbits,_Z21shuffle_rotate_kernelILj255EiEvPT0_S1_i,comdat
.Lfunc_end26:
	.size	_Z21shuffle_rotate_kernelILj255EiEvPT0_S1_i, .Lfunc_end26-_Z21shuffle_rotate_kernelILj255EiEvPT0_S1_i
                                        ; -- End function
	.set _Z21shuffle_rotate_kernelILj255EiEvPT0_S1_i.num_vgpr, 8
	.set _Z21shuffle_rotate_kernelILj255EiEvPT0_S1_i.num_agpr, 0
	.set _Z21shuffle_rotate_kernelILj255EiEvPT0_S1_i.numbered_sgpr, 8
	.set _Z21shuffle_rotate_kernelILj255EiEvPT0_S1_i.num_named_barrier, 0
	.set _Z21shuffle_rotate_kernelILj255EiEvPT0_S1_i.private_seg_size, 0
	.set _Z21shuffle_rotate_kernelILj255EiEvPT0_S1_i.uses_vcc, 1
	.set _Z21shuffle_rotate_kernelILj255EiEvPT0_S1_i.uses_flat_scratch, 0
	.set _Z21shuffle_rotate_kernelILj255EiEvPT0_S1_i.has_dyn_sized_stack, 0
	.set _Z21shuffle_rotate_kernelILj255EiEvPT0_S1_i.has_recursion, 0
	.set _Z21shuffle_rotate_kernelILj255EiEvPT0_S1_i.has_indirect_call, 0
	.section	.AMDGPU.csdata,"",@progbits
; Kernel info:
; codeLenInByte = 164
; TotalNumSgprs: 12
; NumVgprs: 8
; ScratchSize: 0
; MemoryBound: 0
; FloatMode: 240
; IeeeMode: 1
; LDSByteSize: 1020 bytes/workgroup (compile time only)
; SGPRBlocks: 1
; VGPRBlocks: 1
; NumSGPRsForWavesPerEU: 12
; NumVGPRsForWavesPerEU: 8
; Occupancy: 10
; WaveLimiterHint : 0
; COMPUTE_PGM_RSRC2:SCRATCH_EN: 0
; COMPUTE_PGM_RSRC2:USER_SGPR: 6
; COMPUTE_PGM_RSRC2:TRAP_HANDLER: 0
; COMPUTE_PGM_RSRC2:TGID_X_EN: 1
; COMPUTE_PGM_RSRC2:TGID_Y_EN: 0
; COMPUTE_PGM_RSRC2:TGID_Z_EN: 0
; COMPUTE_PGM_RSRC2:TIDIG_COMP_CNT: 0
	.section	.text._Z21shuffle_rotate_kernelILj162EiEvPT0_S1_i,"axG",@progbits,_Z21shuffle_rotate_kernelILj162EiEvPT0_S1_i,comdat
	.protected	_Z21shuffle_rotate_kernelILj162EiEvPT0_S1_i ; -- Begin function _Z21shuffle_rotate_kernelILj162EiEvPT0_S1_i
	.globl	_Z21shuffle_rotate_kernelILj162EiEvPT0_S1_i
	.p2align	8
	.type	_Z21shuffle_rotate_kernelILj162EiEvPT0_S1_i,@function
_Z21shuffle_rotate_kernelILj162EiEvPT0_S1_i: ; @_Z21shuffle_rotate_kernelILj162EiEvPT0_S1_i
; %bb.0:
	s_load_dwordx4 s[0:3], s[4:5], 0x0
	s_load_dword s7, s[4:5], 0x10
	s_mulk_i32 s6, 0xa2
	v_add_u32_e32 v1, s6, v0
	v_mov_b32_e32 v2, 0
	v_lshlrev_b64 v[1:2], 2, v[1:2]
	s_waitcnt lgkmcnt(0)
	v_mov_b32_e32 v4, s1
	v_add_co_u32_e32 v3, vcc, s0, v1
	v_addc_co_u32_e32 v4, vcc, v4, v2, vcc
	global_load_dword v3, v[3:4], off
	v_lshlrev_b32_e32 v4, 2, v0
	v_add_u32_e32 v0, s7, v0
	s_movk_i32 s0, 0xa1
	v_add_u32_e32 v7, 0xa2, v0
	v_cmp_gt_i32_e32 vcc, 0, v0
	v_add_u32_e32 v6, 0xffffff5e, v0
	v_cndmask_b32_e32 v7, v0, v7, vcc
	v_cmp_lt_i32_e32 vcc, s0, v0
	v_cndmask_b32_e32 v0, v7, v6, vcc
	v_lshlrev_b32_e32 v0, 2, v0
	v_mov_b32_e32 v5, s3
	s_waitcnt vmcnt(0)
	ds_write_b32 v4, v3
	s_waitcnt lgkmcnt(0)
	s_barrier
	ds_read_b32 v3, v0
	v_add_co_u32_e32 v0, vcc, s2, v1
	v_addc_co_u32_e32 v1, vcc, v5, v2, vcc
	s_waitcnt lgkmcnt(0)
	global_store_dword v[0:1], v3, off
	s_endpgm
	.section	.rodata,"a",@progbits
	.p2align	6, 0x0
	.amdhsa_kernel _Z21shuffle_rotate_kernelILj162EiEvPT0_S1_i
		.amdhsa_group_segment_fixed_size 648
		.amdhsa_private_segment_fixed_size 0
		.amdhsa_kernarg_size 20
		.amdhsa_user_sgpr_count 6
		.amdhsa_user_sgpr_private_segment_buffer 1
		.amdhsa_user_sgpr_dispatch_ptr 0
		.amdhsa_user_sgpr_queue_ptr 0
		.amdhsa_user_sgpr_kernarg_segment_ptr 1
		.amdhsa_user_sgpr_dispatch_id 0
		.amdhsa_user_sgpr_flat_scratch_init 0
		.amdhsa_user_sgpr_private_segment_size 0
		.amdhsa_uses_dynamic_stack 0
		.amdhsa_system_sgpr_private_segment_wavefront_offset 0
		.amdhsa_system_sgpr_workgroup_id_x 1
		.amdhsa_system_sgpr_workgroup_id_y 0
		.amdhsa_system_sgpr_workgroup_id_z 0
		.amdhsa_system_sgpr_workgroup_info 0
		.amdhsa_system_vgpr_workitem_id 0
		.amdhsa_next_free_vgpr 8
		.amdhsa_next_free_sgpr 8
		.amdhsa_reserve_vcc 1
		.amdhsa_reserve_flat_scratch 0
		.amdhsa_float_round_mode_32 0
		.amdhsa_float_round_mode_16_64 0
		.amdhsa_float_denorm_mode_32 3
		.amdhsa_float_denorm_mode_16_64 3
		.amdhsa_dx10_clamp 1
		.amdhsa_ieee_mode 1
		.amdhsa_fp16_overflow 0
		.amdhsa_exception_fp_ieee_invalid_op 0
		.amdhsa_exception_fp_denorm_src 0
		.amdhsa_exception_fp_ieee_div_zero 0
		.amdhsa_exception_fp_ieee_overflow 0
		.amdhsa_exception_fp_ieee_underflow 0
		.amdhsa_exception_fp_ieee_inexact 0
		.amdhsa_exception_int_div_zero 0
	.end_amdhsa_kernel
	.section	.text._Z21shuffle_rotate_kernelILj162EiEvPT0_S1_i,"axG",@progbits,_Z21shuffle_rotate_kernelILj162EiEvPT0_S1_i,comdat
.Lfunc_end27:
	.size	_Z21shuffle_rotate_kernelILj162EiEvPT0_S1_i, .Lfunc_end27-_Z21shuffle_rotate_kernelILj162EiEvPT0_S1_i
                                        ; -- End function
	.set _Z21shuffle_rotate_kernelILj162EiEvPT0_S1_i.num_vgpr, 8
	.set _Z21shuffle_rotate_kernelILj162EiEvPT0_S1_i.num_agpr, 0
	.set _Z21shuffle_rotate_kernelILj162EiEvPT0_S1_i.numbered_sgpr, 8
	.set _Z21shuffle_rotate_kernelILj162EiEvPT0_S1_i.num_named_barrier, 0
	.set _Z21shuffle_rotate_kernelILj162EiEvPT0_S1_i.private_seg_size, 0
	.set _Z21shuffle_rotate_kernelILj162EiEvPT0_S1_i.uses_vcc, 1
	.set _Z21shuffle_rotate_kernelILj162EiEvPT0_S1_i.uses_flat_scratch, 0
	.set _Z21shuffle_rotate_kernelILj162EiEvPT0_S1_i.has_dyn_sized_stack, 0
	.set _Z21shuffle_rotate_kernelILj162EiEvPT0_S1_i.has_recursion, 0
	.set _Z21shuffle_rotate_kernelILj162EiEvPT0_S1_i.has_indirect_call, 0
	.section	.AMDGPU.csdata,"",@progbits
; Kernel info:
; codeLenInByte = 164
; TotalNumSgprs: 12
; NumVgprs: 8
; ScratchSize: 0
; MemoryBound: 0
; FloatMode: 240
; IeeeMode: 1
; LDSByteSize: 648 bytes/workgroup (compile time only)
; SGPRBlocks: 1
; VGPRBlocks: 1
; NumSGPRsForWavesPerEU: 12
; NumVGPRsForWavesPerEU: 8
; Occupancy: 10
; WaveLimiterHint : 0
; COMPUTE_PGM_RSRC2:SCRATCH_EN: 0
; COMPUTE_PGM_RSRC2:USER_SGPR: 6
; COMPUTE_PGM_RSRC2:TRAP_HANDLER: 0
; COMPUTE_PGM_RSRC2:TGID_X_EN: 1
; COMPUTE_PGM_RSRC2:TGID_Y_EN: 0
; COMPUTE_PGM_RSRC2:TGID_Z_EN: 0
; COMPUTE_PGM_RSRC2:TIDIG_COMP_CNT: 0
	.section	.text._Z21shuffle_rotate_kernelILj37EiEvPT0_S1_i,"axG",@progbits,_Z21shuffle_rotate_kernelILj37EiEvPT0_S1_i,comdat
	.protected	_Z21shuffle_rotate_kernelILj37EiEvPT0_S1_i ; -- Begin function _Z21shuffle_rotate_kernelILj37EiEvPT0_S1_i
	.globl	_Z21shuffle_rotate_kernelILj37EiEvPT0_S1_i
	.p2align	8
	.type	_Z21shuffle_rotate_kernelILj37EiEvPT0_S1_i,@function
_Z21shuffle_rotate_kernelILj37EiEvPT0_S1_i: ; @_Z21shuffle_rotate_kernelILj37EiEvPT0_S1_i
; %bb.0:
	v_mad_u64_u32 v[1:2], s[0:1], s6, 37, v[0:1]
	s_load_dwordx4 s[0:3], s[4:5], 0x0
	s_load_dword s6, s[4:5], 0x10
	v_mov_b32_e32 v2, 0
	v_lshlrev_b64 v[1:2], 2, v[1:2]
	s_waitcnt lgkmcnt(0)
	v_mov_b32_e32 v4, s1
	v_add_co_u32_e32 v3, vcc, s0, v1
	v_addc_co_u32_e32 v4, vcc, v4, v2, vcc
	global_load_dword v3, v[3:4], off
	v_lshlrev_b32_e32 v4, 2, v0
	v_add_u32_e32 v0, s6, v0
	v_add_u32_e32 v7, 37, v0
	v_cmp_gt_i32_e32 vcc, 0, v0
	v_subrev_u32_e32 v6, 37, v0
	v_cndmask_b32_e32 v7, v0, v7, vcc
	v_cmp_lt_i32_e32 vcc, 36, v0
	v_cndmask_b32_e32 v0, v7, v6, vcc
	v_lshlrev_b32_e32 v0, 2, v0
	v_mov_b32_e32 v5, s3
	s_waitcnt vmcnt(0)
	ds_write_b32 v4, v3
	s_waitcnt lgkmcnt(0)
	; wave barrier
	ds_read_b32 v3, v0
	v_add_co_u32_e32 v0, vcc, s2, v1
	v_addc_co_u32_e32 v1, vcc, v5, v2, vcc
	s_waitcnt lgkmcnt(0)
	global_store_dword v[0:1], v3, off
	s_endpgm
	.section	.rodata,"a",@progbits
	.p2align	6, 0x0
	.amdhsa_kernel _Z21shuffle_rotate_kernelILj37EiEvPT0_S1_i
		.amdhsa_group_segment_fixed_size 148
		.amdhsa_private_segment_fixed_size 0
		.amdhsa_kernarg_size 20
		.amdhsa_user_sgpr_count 6
		.amdhsa_user_sgpr_private_segment_buffer 1
		.amdhsa_user_sgpr_dispatch_ptr 0
		.amdhsa_user_sgpr_queue_ptr 0
		.amdhsa_user_sgpr_kernarg_segment_ptr 1
		.amdhsa_user_sgpr_dispatch_id 0
		.amdhsa_user_sgpr_flat_scratch_init 0
		.amdhsa_user_sgpr_private_segment_size 0
		.amdhsa_uses_dynamic_stack 0
		.amdhsa_system_sgpr_private_segment_wavefront_offset 0
		.amdhsa_system_sgpr_workgroup_id_x 1
		.amdhsa_system_sgpr_workgroup_id_y 0
		.amdhsa_system_sgpr_workgroup_id_z 0
		.amdhsa_system_sgpr_workgroup_info 0
		.amdhsa_system_vgpr_workitem_id 0
		.amdhsa_next_free_vgpr 8
		.amdhsa_next_free_sgpr 7
		.amdhsa_reserve_vcc 1
		.amdhsa_reserve_flat_scratch 0
		.amdhsa_float_round_mode_32 0
		.amdhsa_float_round_mode_16_64 0
		.amdhsa_float_denorm_mode_32 3
		.amdhsa_float_denorm_mode_16_64 3
		.amdhsa_dx10_clamp 1
		.amdhsa_ieee_mode 1
		.amdhsa_fp16_overflow 0
		.amdhsa_exception_fp_ieee_invalid_op 0
		.amdhsa_exception_fp_denorm_src 0
		.amdhsa_exception_fp_ieee_div_zero 0
		.amdhsa_exception_fp_ieee_overflow 0
		.amdhsa_exception_fp_ieee_underflow 0
		.amdhsa_exception_fp_ieee_inexact 0
		.amdhsa_exception_int_div_zero 0
	.end_amdhsa_kernel
	.section	.text._Z21shuffle_rotate_kernelILj37EiEvPT0_S1_i,"axG",@progbits,_Z21shuffle_rotate_kernelILj37EiEvPT0_S1_i,comdat
.Lfunc_end28:
	.size	_Z21shuffle_rotate_kernelILj37EiEvPT0_S1_i, .Lfunc_end28-_Z21shuffle_rotate_kernelILj37EiEvPT0_S1_i
                                        ; -- End function
	.set _Z21shuffle_rotate_kernelILj37EiEvPT0_S1_i.num_vgpr, 8
	.set _Z21shuffle_rotate_kernelILj37EiEvPT0_S1_i.num_agpr, 0
	.set _Z21shuffle_rotate_kernelILj37EiEvPT0_S1_i.numbered_sgpr, 7
	.set _Z21shuffle_rotate_kernelILj37EiEvPT0_S1_i.num_named_barrier, 0
	.set _Z21shuffle_rotate_kernelILj37EiEvPT0_S1_i.private_seg_size, 0
	.set _Z21shuffle_rotate_kernelILj37EiEvPT0_S1_i.uses_vcc, 1
	.set _Z21shuffle_rotate_kernelILj37EiEvPT0_S1_i.uses_flat_scratch, 0
	.set _Z21shuffle_rotate_kernelILj37EiEvPT0_S1_i.has_dyn_sized_stack, 0
	.set _Z21shuffle_rotate_kernelILj37EiEvPT0_S1_i.has_recursion, 0
	.set _Z21shuffle_rotate_kernelILj37EiEvPT0_S1_i.has_indirect_call, 0
	.section	.AMDGPU.csdata,"",@progbits
; Kernel info:
; codeLenInByte = 148
; TotalNumSgprs: 11
; NumVgprs: 8
; ScratchSize: 0
; MemoryBound: 0
; FloatMode: 240
; IeeeMode: 1
; LDSByteSize: 148 bytes/workgroup (compile time only)
; SGPRBlocks: 1
; VGPRBlocks: 1
; NumSGPRsForWavesPerEU: 11
; NumVGPRsForWavesPerEU: 8
; Occupancy: 10
; WaveLimiterHint : 0
; COMPUTE_PGM_RSRC2:SCRATCH_EN: 0
; COMPUTE_PGM_RSRC2:USER_SGPR: 6
; COMPUTE_PGM_RSRC2:TRAP_HANDLER: 0
; COMPUTE_PGM_RSRC2:TGID_X_EN: 1
; COMPUTE_PGM_RSRC2:TGID_Y_EN: 0
; COMPUTE_PGM_RSRC2:TGID_Z_EN: 0
; COMPUTE_PGM_RSRC2:TIDIG_COMP_CNT: 0
	.section	.text._Z21shuffle_rotate_kernelILj65EiEvPT0_S1_i,"axG",@progbits,_Z21shuffle_rotate_kernelILj65EiEvPT0_S1_i,comdat
	.protected	_Z21shuffle_rotate_kernelILj65EiEvPT0_S1_i ; -- Begin function _Z21shuffle_rotate_kernelILj65EiEvPT0_S1_i
	.globl	_Z21shuffle_rotate_kernelILj65EiEvPT0_S1_i
	.p2align	8
	.type	_Z21shuffle_rotate_kernelILj65EiEvPT0_S1_i,@function
_Z21shuffle_rotate_kernelILj65EiEvPT0_S1_i: ; @_Z21shuffle_rotate_kernelILj65EiEvPT0_S1_i
; %bb.0:
	s_load_dwordx4 s[0:3], s[4:5], 0x0
	s_load_dword s7, s[4:5], 0x10
	s_mulk_i32 s6, 0x41
	v_add_u32_e32 v1, s6, v0
	v_mov_b32_e32 v2, 0
	v_lshlrev_b64 v[1:2], 2, v[1:2]
	s_waitcnt lgkmcnt(0)
	v_mov_b32_e32 v4, s1
	v_add_co_u32_e32 v3, vcc, s0, v1
	v_addc_co_u32_e32 v4, vcc, v4, v2, vcc
	global_load_dword v3, v[3:4], off
	v_lshlrev_b32_e32 v4, 2, v0
	v_add_u32_e32 v0, s7, v0
	v_add_u32_e32 v7, 0x41, v0
	v_cmp_gt_i32_e32 vcc, 0, v0
	v_add_u32_e32 v6, 0xffffffbf, v0
	v_cndmask_b32_e32 v7, v0, v7, vcc
	v_cmp_lt_i32_e32 vcc, 64, v0
	v_cndmask_b32_e32 v0, v7, v6, vcc
	v_lshlrev_b32_e32 v0, 2, v0
	v_mov_b32_e32 v5, s3
	s_waitcnt vmcnt(0)
	ds_write_b32 v4, v3
	s_waitcnt lgkmcnt(0)
	s_barrier
	ds_read_b32 v3, v0
	v_add_co_u32_e32 v0, vcc, s2, v1
	v_addc_co_u32_e32 v1, vcc, v5, v2, vcc
	s_waitcnt lgkmcnt(0)
	global_store_dword v[0:1], v3, off
	s_endpgm
	.section	.rodata,"a",@progbits
	.p2align	6, 0x0
	.amdhsa_kernel _Z21shuffle_rotate_kernelILj65EiEvPT0_S1_i
		.amdhsa_group_segment_fixed_size 260
		.amdhsa_private_segment_fixed_size 0
		.amdhsa_kernarg_size 20
		.amdhsa_user_sgpr_count 6
		.amdhsa_user_sgpr_private_segment_buffer 1
		.amdhsa_user_sgpr_dispatch_ptr 0
		.amdhsa_user_sgpr_queue_ptr 0
		.amdhsa_user_sgpr_kernarg_segment_ptr 1
		.amdhsa_user_sgpr_dispatch_id 0
		.amdhsa_user_sgpr_flat_scratch_init 0
		.amdhsa_user_sgpr_private_segment_size 0
		.amdhsa_uses_dynamic_stack 0
		.amdhsa_system_sgpr_private_segment_wavefront_offset 0
		.amdhsa_system_sgpr_workgroup_id_x 1
		.amdhsa_system_sgpr_workgroup_id_y 0
		.amdhsa_system_sgpr_workgroup_id_z 0
		.amdhsa_system_sgpr_workgroup_info 0
		.amdhsa_system_vgpr_workitem_id 0
		.amdhsa_next_free_vgpr 8
		.amdhsa_next_free_sgpr 8
		.amdhsa_reserve_vcc 1
		.amdhsa_reserve_flat_scratch 0
		.amdhsa_float_round_mode_32 0
		.amdhsa_float_round_mode_16_64 0
		.amdhsa_float_denorm_mode_32 3
		.amdhsa_float_denorm_mode_16_64 3
		.amdhsa_dx10_clamp 1
		.amdhsa_ieee_mode 1
		.amdhsa_fp16_overflow 0
		.amdhsa_exception_fp_ieee_invalid_op 0
		.amdhsa_exception_fp_denorm_src 0
		.amdhsa_exception_fp_ieee_div_zero 0
		.amdhsa_exception_fp_ieee_overflow 0
		.amdhsa_exception_fp_ieee_underflow 0
		.amdhsa_exception_fp_ieee_inexact 0
		.amdhsa_exception_int_div_zero 0
	.end_amdhsa_kernel
	.section	.text._Z21shuffle_rotate_kernelILj65EiEvPT0_S1_i,"axG",@progbits,_Z21shuffle_rotate_kernelILj65EiEvPT0_S1_i,comdat
.Lfunc_end29:
	.size	_Z21shuffle_rotate_kernelILj65EiEvPT0_S1_i, .Lfunc_end29-_Z21shuffle_rotate_kernelILj65EiEvPT0_S1_i
                                        ; -- End function
	.set _Z21shuffle_rotate_kernelILj65EiEvPT0_S1_i.num_vgpr, 8
	.set _Z21shuffle_rotate_kernelILj65EiEvPT0_S1_i.num_agpr, 0
	.set _Z21shuffle_rotate_kernelILj65EiEvPT0_S1_i.numbered_sgpr, 8
	.set _Z21shuffle_rotate_kernelILj65EiEvPT0_S1_i.num_named_barrier, 0
	.set _Z21shuffle_rotate_kernelILj65EiEvPT0_S1_i.private_seg_size, 0
	.set _Z21shuffle_rotate_kernelILj65EiEvPT0_S1_i.uses_vcc, 1
	.set _Z21shuffle_rotate_kernelILj65EiEvPT0_S1_i.uses_flat_scratch, 0
	.set _Z21shuffle_rotate_kernelILj65EiEvPT0_S1_i.has_dyn_sized_stack, 0
	.set _Z21shuffle_rotate_kernelILj65EiEvPT0_S1_i.has_recursion, 0
	.set _Z21shuffle_rotate_kernelILj65EiEvPT0_S1_i.has_indirect_call, 0
	.section	.AMDGPU.csdata,"",@progbits
; Kernel info:
; codeLenInByte = 160
; TotalNumSgprs: 12
; NumVgprs: 8
; ScratchSize: 0
; MemoryBound: 0
; FloatMode: 240
; IeeeMode: 1
; LDSByteSize: 260 bytes/workgroup (compile time only)
; SGPRBlocks: 1
; VGPRBlocks: 1
; NumSGPRsForWavesPerEU: 12
; NumVGPRsForWavesPerEU: 8
; Occupancy: 10
; WaveLimiterHint : 0
; COMPUTE_PGM_RSRC2:SCRATCH_EN: 0
; COMPUTE_PGM_RSRC2:USER_SGPR: 6
; COMPUTE_PGM_RSRC2:TRAP_HANDLER: 0
; COMPUTE_PGM_RSRC2:TGID_X_EN: 1
; COMPUTE_PGM_RSRC2:TGID_Y_EN: 0
; COMPUTE_PGM_RSRC2:TGID_Z_EN: 0
; COMPUTE_PGM_RSRC2:TIDIG_COMP_CNT: 0
	.section	.text._Z21shuffle_rotate_kernelILj512EiEvPT0_S1_i,"axG",@progbits,_Z21shuffle_rotate_kernelILj512EiEvPT0_S1_i,comdat
	.protected	_Z21shuffle_rotate_kernelILj512EiEvPT0_S1_i ; -- Begin function _Z21shuffle_rotate_kernelILj512EiEvPT0_S1_i
	.globl	_Z21shuffle_rotate_kernelILj512EiEvPT0_S1_i
	.p2align	8
	.type	_Z21shuffle_rotate_kernelILj512EiEvPT0_S1_i,@function
_Z21shuffle_rotate_kernelILj512EiEvPT0_S1_i: ; @_Z21shuffle_rotate_kernelILj512EiEvPT0_S1_i
; %bb.0:
	s_load_dwordx4 s[0:3], s[4:5], 0x0
	s_load_dword s7, s[4:5], 0x10
	v_lshl_or_b32 v1, s6, 9, v0
	v_mov_b32_e32 v2, 0
	v_lshlrev_b64 v[1:2], 2, v[1:2]
	s_waitcnt lgkmcnt(0)
	v_mov_b32_e32 v4, s1
	v_add_co_u32_e32 v3, vcc, s0, v1
	v_addc_co_u32_e32 v4, vcc, v4, v2, vcc
	global_load_dword v3, v[3:4], off
	v_lshlrev_b32_e32 v5, 2, v0
	v_add_u32_e32 v0, s7, v0
	s_movk_i32 s0, 0x200
	v_lshrrev_b32_e32 v7, 22, v0
	v_mov_b32_e32 v4, 0xfffffe00
	v_and_b32_e32 v7, 0x200, v7
	v_cmp_gt_i32_e32 vcc, s0, v0
	v_cndmask_b32_e32 v0, v4, v7, vcc
	s_lshl_b32 s1, s7, 2
	v_lshlrev_b32_e32 v0, 2, v0
	v_add3_u32 v0, v5, s1, v0
	v_mov_b32_e32 v6, s3
	s_waitcnt vmcnt(0)
	ds_write_b32 v5, v3
	s_waitcnt lgkmcnt(0)
	s_barrier
	ds_read_b32 v3, v0
	v_add_co_u32_e32 v0, vcc, s2, v1
	v_addc_co_u32_e32 v1, vcc, v6, v2, vcc
	s_waitcnt lgkmcnt(0)
	global_store_dword v[0:1], v3, off
	s_endpgm
	.section	.rodata,"a",@progbits
	.p2align	6, 0x0
	.amdhsa_kernel _Z21shuffle_rotate_kernelILj512EiEvPT0_S1_i
		.amdhsa_group_segment_fixed_size 2048
		.amdhsa_private_segment_fixed_size 0
		.amdhsa_kernarg_size 20
		.amdhsa_user_sgpr_count 6
		.amdhsa_user_sgpr_private_segment_buffer 1
		.amdhsa_user_sgpr_dispatch_ptr 0
		.amdhsa_user_sgpr_queue_ptr 0
		.amdhsa_user_sgpr_kernarg_segment_ptr 1
		.amdhsa_user_sgpr_dispatch_id 0
		.amdhsa_user_sgpr_flat_scratch_init 0
		.amdhsa_user_sgpr_private_segment_size 0
		.amdhsa_uses_dynamic_stack 0
		.amdhsa_system_sgpr_private_segment_wavefront_offset 0
		.amdhsa_system_sgpr_workgroup_id_x 1
		.amdhsa_system_sgpr_workgroup_id_y 0
		.amdhsa_system_sgpr_workgroup_id_z 0
		.amdhsa_system_sgpr_workgroup_info 0
		.amdhsa_system_vgpr_workitem_id 0
		.amdhsa_next_free_vgpr 8
		.amdhsa_next_free_sgpr 8
		.amdhsa_reserve_vcc 1
		.amdhsa_reserve_flat_scratch 0
		.amdhsa_float_round_mode_32 0
		.amdhsa_float_round_mode_16_64 0
		.amdhsa_float_denorm_mode_32 3
		.amdhsa_float_denorm_mode_16_64 3
		.amdhsa_dx10_clamp 1
		.amdhsa_ieee_mode 1
		.amdhsa_fp16_overflow 0
		.amdhsa_exception_fp_ieee_invalid_op 0
		.amdhsa_exception_fp_denorm_src 0
		.amdhsa_exception_fp_ieee_div_zero 0
		.amdhsa_exception_fp_ieee_overflow 0
		.amdhsa_exception_fp_ieee_underflow 0
		.amdhsa_exception_fp_ieee_inexact 0
		.amdhsa_exception_int_div_zero 0
	.end_amdhsa_kernel
	.section	.text._Z21shuffle_rotate_kernelILj512EiEvPT0_S1_i,"axG",@progbits,_Z21shuffle_rotate_kernelILj512EiEvPT0_S1_i,comdat
.Lfunc_end30:
	.size	_Z21shuffle_rotate_kernelILj512EiEvPT0_S1_i, .Lfunc_end30-_Z21shuffle_rotate_kernelILj512EiEvPT0_S1_i
                                        ; -- End function
	.set _Z21shuffle_rotate_kernelILj512EiEvPT0_S1_i.num_vgpr, 8
	.set _Z21shuffle_rotate_kernelILj512EiEvPT0_S1_i.num_agpr, 0
	.set _Z21shuffle_rotate_kernelILj512EiEvPT0_S1_i.numbered_sgpr, 8
	.set _Z21shuffle_rotate_kernelILj512EiEvPT0_S1_i.num_named_barrier, 0
	.set _Z21shuffle_rotate_kernelILj512EiEvPT0_S1_i.private_seg_size, 0
	.set _Z21shuffle_rotate_kernelILj512EiEvPT0_S1_i.uses_vcc, 1
	.set _Z21shuffle_rotate_kernelILj512EiEvPT0_S1_i.uses_flat_scratch, 0
	.set _Z21shuffle_rotate_kernelILj512EiEvPT0_S1_i.has_dyn_sized_stack, 0
	.set _Z21shuffle_rotate_kernelILj512EiEvPT0_S1_i.has_recursion, 0
	.set _Z21shuffle_rotate_kernelILj512EiEvPT0_S1_i.has_indirect_call, 0
	.section	.AMDGPU.csdata,"",@progbits
; Kernel info:
; codeLenInByte = 172
; TotalNumSgprs: 12
; NumVgprs: 8
; ScratchSize: 0
; MemoryBound: 0
; FloatMode: 240
; IeeeMode: 1
; LDSByteSize: 2048 bytes/workgroup (compile time only)
; SGPRBlocks: 1
; VGPRBlocks: 1
; NumSGPRsForWavesPerEU: 12
; NumVGPRsForWavesPerEU: 8
; Occupancy: 10
; WaveLimiterHint : 0
; COMPUTE_PGM_RSRC2:SCRATCH_EN: 0
; COMPUTE_PGM_RSRC2:USER_SGPR: 6
; COMPUTE_PGM_RSRC2:TRAP_HANDLER: 0
; COMPUTE_PGM_RSRC2:TGID_X_EN: 1
; COMPUTE_PGM_RSRC2:TGID_Y_EN: 0
; COMPUTE_PGM_RSRC2:TGID_Z_EN: 0
; COMPUTE_PGM_RSRC2:TIDIG_COMP_CNT: 0
	.section	.text._Z21shuffle_rotate_kernelILj256EiEvPT0_S1_i,"axG",@progbits,_Z21shuffle_rotate_kernelILj256EiEvPT0_S1_i,comdat
	.protected	_Z21shuffle_rotate_kernelILj256EiEvPT0_S1_i ; -- Begin function _Z21shuffle_rotate_kernelILj256EiEvPT0_S1_i
	.globl	_Z21shuffle_rotate_kernelILj256EiEvPT0_S1_i
	.p2align	8
	.type	_Z21shuffle_rotate_kernelILj256EiEvPT0_S1_i,@function
_Z21shuffle_rotate_kernelILj256EiEvPT0_S1_i: ; @_Z21shuffle_rotate_kernelILj256EiEvPT0_S1_i
; %bb.0:
	s_load_dwordx4 s[0:3], s[4:5], 0x0
	s_load_dword s7, s[4:5], 0x10
	v_lshl_or_b32 v1, s6, 8, v0
	v_mov_b32_e32 v2, 0
	v_lshlrev_b64 v[1:2], 2, v[1:2]
	s_waitcnt lgkmcnt(0)
	v_mov_b32_e32 v4, s1
	v_add_co_u32_e32 v3, vcc, s0, v1
	v_addc_co_u32_e32 v4, vcc, v4, v2, vcc
	global_load_dword v3, v[3:4], off
	v_lshlrev_b32_e32 v5, 2, v0
	v_add_u32_e32 v0, s7, v0
	s_movk_i32 s0, 0x100
	v_lshrrev_b32_e32 v7, 23, v0
	v_mov_b32_e32 v4, 0xffffff00
	v_and_b32_e32 v7, 0x100, v7
	v_cmp_gt_i32_e32 vcc, s0, v0
	v_cndmask_b32_e32 v0, v4, v7, vcc
	s_lshl_b32 s1, s7, 2
	v_lshlrev_b32_e32 v0, 2, v0
	v_add3_u32 v0, v5, s1, v0
	v_mov_b32_e32 v6, s3
	s_waitcnt vmcnt(0)
	ds_write_b32 v5, v3
	s_waitcnt lgkmcnt(0)
	s_barrier
	ds_read_b32 v3, v0
	v_add_co_u32_e32 v0, vcc, s2, v1
	v_addc_co_u32_e32 v1, vcc, v6, v2, vcc
	s_waitcnt lgkmcnt(0)
	global_store_dword v[0:1], v3, off
	s_endpgm
	.section	.rodata,"a",@progbits
	.p2align	6, 0x0
	.amdhsa_kernel _Z21shuffle_rotate_kernelILj256EiEvPT0_S1_i
		.amdhsa_group_segment_fixed_size 1024
		.amdhsa_private_segment_fixed_size 0
		.amdhsa_kernarg_size 20
		.amdhsa_user_sgpr_count 6
		.amdhsa_user_sgpr_private_segment_buffer 1
		.amdhsa_user_sgpr_dispatch_ptr 0
		.amdhsa_user_sgpr_queue_ptr 0
		.amdhsa_user_sgpr_kernarg_segment_ptr 1
		.amdhsa_user_sgpr_dispatch_id 0
		.amdhsa_user_sgpr_flat_scratch_init 0
		.amdhsa_user_sgpr_private_segment_size 0
		.amdhsa_uses_dynamic_stack 0
		.amdhsa_system_sgpr_private_segment_wavefront_offset 0
		.amdhsa_system_sgpr_workgroup_id_x 1
		.amdhsa_system_sgpr_workgroup_id_y 0
		.amdhsa_system_sgpr_workgroup_id_z 0
		.amdhsa_system_sgpr_workgroup_info 0
		.amdhsa_system_vgpr_workitem_id 0
		.amdhsa_next_free_vgpr 8
		.amdhsa_next_free_sgpr 8
		.amdhsa_reserve_vcc 1
		.amdhsa_reserve_flat_scratch 0
		.amdhsa_float_round_mode_32 0
		.amdhsa_float_round_mode_16_64 0
		.amdhsa_float_denorm_mode_32 3
		.amdhsa_float_denorm_mode_16_64 3
		.amdhsa_dx10_clamp 1
		.amdhsa_ieee_mode 1
		.amdhsa_fp16_overflow 0
		.amdhsa_exception_fp_ieee_invalid_op 0
		.amdhsa_exception_fp_denorm_src 0
		.amdhsa_exception_fp_ieee_div_zero 0
		.amdhsa_exception_fp_ieee_overflow 0
		.amdhsa_exception_fp_ieee_underflow 0
		.amdhsa_exception_fp_ieee_inexact 0
		.amdhsa_exception_int_div_zero 0
	.end_amdhsa_kernel
	.section	.text._Z21shuffle_rotate_kernelILj256EiEvPT0_S1_i,"axG",@progbits,_Z21shuffle_rotate_kernelILj256EiEvPT0_S1_i,comdat
.Lfunc_end31:
	.size	_Z21shuffle_rotate_kernelILj256EiEvPT0_S1_i, .Lfunc_end31-_Z21shuffle_rotate_kernelILj256EiEvPT0_S1_i
                                        ; -- End function
	.set _Z21shuffle_rotate_kernelILj256EiEvPT0_S1_i.num_vgpr, 8
	.set _Z21shuffle_rotate_kernelILj256EiEvPT0_S1_i.num_agpr, 0
	.set _Z21shuffle_rotate_kernelILj256EiEvPT0_S1_i.numbered_sgpr, 8
	.set _Z21shuffle_rotate_kernelILj256EiEvPT0_S1_i.num_named_barrier, 0
	.set _Z21shuffle_rotate_kernelILj256EiEvPT0_S1_i.private_seg_size, 0
	.set _Z21shuffle_rotate_kernelILj256EiEvPT0_S1_i.uses_vcc, 1
	.set _Z21shuffle_rotate_kernelILj256EiEvPT0_S1_i.uses_flat_scratch, 0
	.set _Z21shuffle_rotate_kernelILj256EiEvPT0_S1_i.has_dyn_sized_stack, 0
	.set _Z21shuffle_rotate_kernelILj256EiEvPT0_S1_i.has_recursion, 0
	.set _Z21shuffle_rotate_kernelILj256EiEvPT0_S1_i.has_indirect_call, 0
	.section	.AMDGPU.csdata,"",@progbits
; Kernel info:
; codeLenInByte = 172
; TotalNumSgprs: 12
; NumVgprs: 8
; ScratchSize: 0
; MemoryBound: 0
; FloatMode: 240
; IeeeMode: 1
; LDSByteSize: 1024 bytes/workgroup (compile time only)
; SGPRBlocks: 1
; VGPRBlocks: 1
; NumSGPRsForWavesPerEU: 12
; NumVGPRsForWavesPerEU: 8
; Occupancy: 10
; WaveLimiterHint : 0
; COMPUTE_PGM_RSRC2:SCRATCH_EN: 0
; COMPUTE_PGM_RSRC2:USER_SGPR: 6
; COMPUTE_PGM_RSRC2:TRAP_HANDLER: 0
; COMPUTE_PGM_RSRC2:TGID_X_EN: 1
; COMPUTE_PGM_RSRC2:TGID_Y_EN: 0
; COMPUTE_PGM_RSRC2:TGID_Z_EN: 0
; COMPUTE_PGM_RSRC2:TIDIG_COMP_CNT: 0
	.section	.text._Z21shuffle_rotate_kernelILj128EiEvPT0_S1_i,"axG",@progbits,_Z21shuffle_rotate_kernelILj128EiEvPT0_S1_i,comdat
	.protected	_Z21shuffle_rotate_kernelILj128EiEvPT0_S1_i ; -- Begin function _Z21shuffle_rotate_kernelILj128EiEvPT0_S1_i
	.globl	_Z21shuffle_rotate_kernelILj128EiEvPT0_S1_i
	.p2align	8
	.type	_Z21shuffle_rotate_kernelILj128EiEvPT0_S1_i,@function
_Z21shuffle_rotate_kernelILj128EiEvPT0_S1_i: ; @_Z21shuffle_rotate_kernelILj128EiEvPT0_S1_i
; %bb.0:
	s_load_dwordx4 s[0:3], s[4:5], 0x0
	s_load_dword s7, s[4:5], 0x10
	v_lshl_or_b32 v1, s6, 7, v0
	v_mov_b32_e32 v2, 0
	v_lshlrev_b64 v[1:2], 2, v[1:2]
	s_waitcnt lgkmcnt(0)
	v_mov_b32_e32 v4, s1
	v_add_co_u32_e32 v3, vcc, s0, v1
	v_addc_co_u32_e32 v4, vcc, v4, v2, vcc
	global_load_dword v3, v[3:4], off
	s_movk_i32 s0, 0x80
	v_lshlrev_b32_e32 v5, 2, v0
	v_add_u32_e32 v0, s7, v0
	v_mov_b32_e32 v4, 0xffffff80
	v_and_b32_sdwa v7, v0, s0 dst_sel:DWORD dst_unused:UNUSED_PAD src0_sel:BYTE_3 src1_sel:DWORD
	v_cmp_gt_i32_e32 vcc, s0, v0
	v_cndmask_b32_e32 v0, v4, v7, vcc
	s_lshl_b32 s1, s7, 2
	v_lshlrev_b32_e32 v0, 2, v0
	v_add3_u32 v0, v5, s1, v0
	v_mov_b32_e32 v6, s3
	s_waitcnt vmcnt(0)
	ds_write_b32 v5, v3
	s_waitcnt lgkmcnt(0)
	s_barrier
	ds_read_b32 v3, v0
	v_add_co_u32_e32 v0, vcc, s2, v1
	v_addc_co_u32_e32 v1, vcc, v6, v2, vcc
	s_waitcnt lgkmcnt(0)
	global_store_dword v[0:1], v3, off
	s_endpgm
	.section	.rodata,"a",@progbits
	.p2align	6, 0x0
	.amdhsa_kernel _Z21shuffle_rotate_kernelILj128EiEvPT0_S1_i
		.amdhsa_group_segment_fixed_size 512
		.amdhsa_private_segment_fixed_size 0
		.amdhsa_kernarg_size 20
		.amdhsa_user_sgpr_count 6
		.amdhsa_user_sgpr_private_segment_buffer 1
		.amdhsa_user_sgpr_dispatch_ptr 0
		.amdhsa_user_sgpr_queue_ptr 0
		.amdhsa_user_sgpr_kernarg_segment_ptr 1
		.amdhsa_user_sgpr_dispatch_id 0
		.amdhsa_user_sgpr_flat_scratch_init 0
		.amdhsa_user_sgpr_private_segment_size 0
		.amdhsa_uses_dynamic_stack 0
		.amdhsa_system_sgpr_private_segment_wavefront_offset 0
		.amdhsa_system_sgpr_workgroup_id_x 1
		.amdhsa_system_sgpr_workgroup_id_y 0
		.amdhsa_system_sgpr_workgroup_id_z 0
		.amdhsa_system_sgpr_workgroup_info 0
		.amdhsa_system_vgpr_workitem_id 0
		.amdhsa_next_free_vgpr 8
		.amdhsa_next_free_sgpr 8
		.amdhsa_reserve_vcc 1
		.amdhsa_reserve_flat_scratch 0
		.amdhsa_float_round_mode_32 0
		.amdhsa_float_round_mode_16_64 0
		.amdhsa_float_denorm_mode_32 3
		.amdhsa_float_denorm_mode_16_64 3
		.amdhsa_dx10_clamp 1
		.amdhsa_ieee_mode 1
		.amdhsa_fp16_overflow 0
		.amdhsa_exception_fp_ieee_invalid_op 0
		.amdhsa_exception_fp_denorm_src 0
		.amdhsa_exception_fp_ieee_div_zero 0
		.amdhsa_exception_fp_ieee_overflow 0
		.amdhsa_exception_fp_ieee_underflow 0
		.amdhsa_exception_fp_ieee_inexact 0
		.amdhsa_exception_int_div_zero 0
	.end_amdhsa_kernel
	.section	.text._Z21shuffle_rotate_kernelILj128EiEvPT0_S1_i,"axG",@progbits,_Z21shuffle_rotate_kernelILj128EiEvPT0_S1_i,comdat
.Lfunc_end32:
	.size	_Z21shuffle_rotate_kernelILj128EiEvPT0_S1_i, .Lfunc_end32-_Z21shuffle_rotate_kernelILj128EiEvPT0_S1_i
                                        ; -- End function
	.set _Z21shuffle_rotate_kernelILj128EiEvPT0_S1_i.num_vgpr, 8
	.set _Z21shuffle_rotate_kernelILj128EiEvPT0_S1_i.num_agpr, 0
	.set _Z21shuffle_rotate_kernelILj128EiEvPT0_S1_i.numbered_sgpr, 8
	.set _Z21shuffle_rotate_kernelILj128EiEvPT0_S1_i.num_named_barrier, 0
	.set _Z21shuffle_rotate_kernelILj128EiEvPT0_S1_i.private_seg_size, 0
	.set _Z21shuffle_rotate_kernelILj128EiEvPT0_S1_i.uses_vcc, 1
	.set _Z21shuffle_rotate_kernelILj128EiEvPT0_S1_i.uses_flat_scratch, 0
	.set _Z21shuffle_rotate_kernelILj128EiEvPT0_S1_i.has_dyn_sized_stack, 0
	.set _Z21shuffle_rotate_kernelILj128EiEvPT0_S1_i.has_recursion, 0
	.set _Z21shuffle_rotate_kernelILj128EiEvPT0_S1_i.has_indirect_call, 0
	.section	.AMDGPU.csdata,"",@progbits
; Kernel info:
; codeLenInByte = 168
; TotalNumSgprs: 12
; NumVgprs: 8
; ScratchSize: 0
; MemoryBound: 0
; FloatMode: 240
; IeeeMode: 1
; LDSByteSize: 512 bytes/workgroup (compile time only)
; SGPRBlocks: 1
; VGPRBlocks: 1
; NumSGPRsForWavesPerEU: 12
; NumVGPRsForWavesPerEU: 8
; Occupancy: 10
; WaveLimiterHint : 0
; COMPUTE_PGM_RSRC2:SCRATCH_EN: 0
; COMPUTE_PGM_RSRC2:USER_SGPR: 6
; COMPUTE_PGM_RSRC2:TRAP_HANDLER: 0
; COMPUTE_PGM_RSRC2:TGID_X_EN: 1
; COMPUTE_PGM_RSRC2:TGID_Y_EN: 0
; COMPUTE_PGM_RSRC2:TGID_Z_EN: 0
; COMPUTE_PGM_RSRC2:TIDIG_COMP_CNT: 0
	.section	.text._Z21shuffle_rotate_kernelILj64EiEvPT0_S1_i,"axG",@progbits,_Z21shuffle_rotate_kernelILj64EiEvPT0_S1_i,comdat
	.protected	_Z21shuffle_rotate_kernelILj64EiEvPT0_S1_i ; -- Begin function _Z21shuffle_rotate_kernelILj64EiEvPT0_S1_i
	.globl	_Z21shuffle_rotate_kernelILj64EiEvPT0_S1_i
	.p2align	8
	.type	_Z21shuffle_rotate_kernelILj64EiEvPT0_S1_i,@function
_Z21shuffle_rotate_kernelILj64EiEvPT0_S1_i: ; @_Z21shuffle_rotate_kernelILj64EiEvPT0_S1_i
; %bb.0:
	s_load_dwordx4 s[0:3], s[4:5], 0x0
	s_load_dword s7, s[4:5], 0x10
	v_lshl_or_b32 v1, s6, 6, v0
	v_mov_b32_e32 v2, 0
	v_lshlrev_b64 v[1:2], 2, v[1:2]
	s_waitcnt lgkmcnt(0)
	v_mov_b32_e32 v4, s1
	v_add_co_u32_e32 v3, vcc, s0, v1
	v_addc_co_u32_e32 v4, vcc, v4, v2, vcc
	global_load_dword v3, v[3:4], off
	v_lshlrev_b32_e32 v5, 2, v0
	v_add_u32_e32 v0, s7, v0
	v_lshrrev_b32_e32 v7, 25, v0
	v_not_b32_e32 v4, 63
	v_and_b32_e32 v7, 64, v7
	v_cmp_gt_i32_e32 vcc, 64, v0
	v_cndmask_b32_e32 v0, v4, v7, vcc
	s_lshl_b32 s0, s7, 2
	v_lshlrev_b32_e32 v0, 2, v0
	v_add3_u32 v0, v5, s0, v0
	v_mov_b32_e32 v6, s3
	s_waitcnt vmcnt(0)
	ds_write_b32 v5, v3
	s_waitcnt lgkmcnt(0)
	; wave barrier
	ds_read_b32 v3, v0
	v_add_co_u32_e32 v0, vcc, s2, v1
	v_addc_co_u32_e32 v1, vcc, v6, v2, vcc
	s_waitcnt lgkmcnt(0)
	global_store_dword v[0:1], v3, off
	s_endpgm
	.section	.rodata,"a",@progbits
	.p2align	6, 0x0
	.amdhsa_kernel _Z21shuffle_rotate_kernelILj64EiEvPT0_S1_i
		.amdhsa_group_segment_fixed_size 256
		.amdhsa_private_segment_fixed_size 0
		.amdhsa_kernarg_size 20
		.amdhsa_user_sgpr_count 6
		.amdhsa_user_sgpr_private_segment_buffer 1
		.amdhsa_user_sgpr_dispatch_ptr 0
		.amdhsa_user_sgpr_queue_ptr 0
		.amdhsa_user_sgpr_kernarg_segment_ptr 1
		.amdhsa_user_sgpr_dispatch_id 0
		.amdhsa_user_sgpr_flat_scratch_init 0
		.amdhsa_user_sgpr_private_segment_size 0
		.amdhsa_uses_dynamic_stack 0
		.amdhsa_system_sgpr_private_segment_wavefront_offset 0
		.amdhsa_system_sgpr_workgroup_id_x 1
		.amdhsa_system_sgpr_workgroup_id_y 0
		.amdhsa_system_sgpr_workgroup_id_z 0
		.amdhsa_system_sgpr_workgroup_info 0
		.amdhsa_system_vgpr_workitem_id 0
		.amdhsa_next_free_vgpr 8
		.amdhsa_next_free_sgpr 8
		.amdhsa_reserve_vcc 1
		.amdhsa_reserve_flat_scratch 0
		.amdhsa_float_round_mode_32 0
		.amdhsa_float_round_mode_16_64 0
		.amdhsa_float_denorm_mode_32 3
		.amdhsa_float_denorm_mode_16_64 3
		.amdhsa_dx10_clamp 1
		.amdhsa_ieee_mode 1
		.amdhsa_fp16_overflow 0
		.amdhsa_exception_fp_ieee_invalid_op 0
		.amdhsa_exception_fp_denorm_src 0
		.amdhsa_exception_fp_ieee_div_zero 0
		.amdhsa_exception_fp_ieee_overflow 0
		.amdhsa_exception_fp_ieee_underflow 0
		.amdhsa_exception_fp_ieee_inexact 0
		.amdhsa_exception_int_div_zero 0
	.end_amdhsa_kernel
	.section	.text._Z21shuffle_rotate_kernelILj64EiEvPT0_S1_i,"axG",@progbits,_Z21shuffle_rotate_kernelILj64EiEvPT0_S1_i,comdat
.Lfunc_end33:
	.size	_Z21shuffle_rotate_kernelILj64EiEvPT0_S1_i, .Lfunc_end33-_Z21shuffle_rotate_kernelILj64EiEvPT0_S1_i
                                        ; -- End function
	.set _Z21shuffle_rotate_kernelILj64EiEvPT0_S1_i.num_vgpr, 8
	.set _Z21shuffle_rotate_kernelILj64EiEvPT0_S1_i.num_agpr, 0
	.set _Z21shuffle_rotate_kernelILj64EiEvPT0_S1_i.numbered_sgpr, 8
	.set _Z21shuffle_rotate_kernelILj64EiEvPT0_S1_i.num_named_barrier, 0
	.set _Z21shuffle_rotate_kernelILj64EiEvPT0_S1_i.private_seg_size, 0
	.set _Z21shuffle_rotate_kernelILj64EiEvPT0_S1_i.uses_vcc, 1
	.set _Z21shuffle_rotate_kernelILj64EiEvPT0_S1_i.uses_flat_scratch, 0
	.set _Z21shuffle_rotate_kernelILj64EiEvPT0_S1_i.has_dyn_sized_stack, 0
	.set _Z21shuffle_rotate_kernelILj64EiEvPT0_S1_i.has_recursion, 0
	.set _Z21shuffle_rotate_kernelILj64EiEvPT0_S1_i.has_indirect_call, 0
	.section	.AMDGPU.csdata,"",@progbits
; Kernel info:
; codeLenInByte = 156
; TotalNumSgprs: 12
; NumVgprs: 8
; ScratchSize: 0
; MemoryBound: 0
; FloatMode: 240
; IeeeMode: 1
; LDSByteSize: 256 bytes/workgroup (compile time only)
; SGPRBlocks: 1
; VGPRBlocks: 1
; NumSGPRsForWavesPerEU: 12
; NumVGPRsForWavesPerEU: 8
; Occupancy: 10
; WaveLimiterHint : 0
; COMPUTE_PGM_RSRC2:SCRATCH_EN: 0
; COMPUTE_PGM_RSRC2:USER_SGPR: 6
; COMPUTE_PGM_RSRC2:TRAP_HANDLER: 0
; COMPUTE_PGM_RSRC2:TGID_X_EN: 1
; COMPUTE_PGM_RSRC2:TGID_Y_EN: 0
; COMPUTE_PGM_RSRC2:TGID_Z_EN: 0
; COMPUTE_PGM_RSRC2:TIDIG_COMP_CNT: 0
	.section	.text._Z17shuffle_up_kernelILj32ELj128E12hip_bfloat16EvPT1_S2_,"axG",@progbits,_Z17shuffle_up_kernelILj32ELj128E12hip_bfloat16EvPT1_S2_,comdat
	.protected	_Z17shuffle_up_kernelILj32ELj128E12hip_bfloat16EvPT1_S2_ ; -- Begin function _Z17shuffle_up_kernelILj32ELj128E12hip_bfloat16EvPT1_S2_
	.globl	_Z17shuffle_up_kernelILj32ELj128E12hip_bfloat16EvPT1_S2_
	.p2align	8
	.type	_Z17shuffle_up_kernelILj32ELj128E12hip_bfloat16EvPT1_S2_,@function
_Z17shuffle_up_kernelILj32ELj128E12hip_bfloat16EvPT1_S2_: ; @_Z17shuffle_up_kernelILj32ELj128E12hip_bfloat16EvPT1_S2_
; %bb.0:
	s_load_dwordx4 s[0:3], s[4:5], 0x0
	v_lshlrev_b32_e32 v1, 7, v0
	v_lshl_or_b32 v1, s6, 12, v1
	v_mov_b32_e32 v2, 0
	v_lshlrev_b64 v[1:2], 1, v[1:2]
	s_waitcnt lgkmcnt(0)
	v_mov_b32_e32 v4, s1
	v_add_co_u32_e32 v3, vcc, s0, v1
	v_addc_co_u32_e32 v4, vcc, v4, v2, vcc
	global_load_dword v5, v[3:4], off offset:252
	v_mov_b32_e32 v6, s3
	v_add_co_u32_e32 v1, vcc, s2, v1
	v_addc_co_u32_e32 v2, vcc, v6, v2, vcc
	v_cmp_ne_u32_e32 vcc, 0, v0
	s_waitcnt vmcnt(0)
	global_store_short v[1:2], v5, off offset:254
	global_load_ushort v6, v[3:4], off offset:250
	s_waitcnt vmcnt(0)
	global_store_short v[1:2], v6, off offset:252
	global_load_ushort v6, v[3:4], off offset:248
	;; [unrolled: 3-line block ×125, first 2 shown]
	s_waitcnt vmcnt(0)
	global_store_short v[1:2], v6, off offset:4
	global_load_ushort v4, v[3:4], off
	v_lshlrev_b32_e32 v3, 1, v0
	ds_write_b16_d16_hi v3, v5
	s_waitcnt vmcnt(0)
	global_store_short v[1:2], v4, off offset:2
	s_waitcnt lgkmcnt(0)
	; wave barrier
	s_and_saveexec_b64 s[0:1], vcc
	s_cbranch_execz .LBB34_2
; %bb.1:
	v_add_u32_e32 v0, -2, v3
	ds_read_u16 v0, v0
	s_waitcnt lgkmcnt(0)
	global_store_short v[1:2], v0, off
.LBB34_2:
	s_endpgm
	.section	.rodata,"a",@progbits
	.p2align	6, 0x0
	.amdhsa_kernel _Z17shuffle_up_kernelILj32ELj128E12hip_bfloat16EvPT1_S2_
		.amdhsa_group_segment_fixed_size 64
		.amdhsa_private_segment_fixed_size 0
		.amdhsa_kernarg_size 16
		.amdhsa_user_sgpr_count 6
		.amdhsa_user_sgpr_private_segment_buffer 1
		.amdhsa_user_sgpr_dispatch_ptr 0
		.amdhsa_user_sgpr_queue_ptr 0
		.amdhsa_user_sgpr_kernarg_segment_ptr 1
		.amdhsa_user_sgpr_dispatch_id 0
		.amdhsa_user_sgpr_flat_scratch_init 0
		.amdhsa_user_sgpr_private_segment_size 0
		.amdhsa_uses_dynamic_stack 0
		.amdhsa_system_sgpr_private_segment_wavefront_offset 0
		.amdhsa_system_sgpr_workgroup_id_x 1
		.amdhsa_system_sgpr_workgroup_id_y 0
		.amdhsa_system_sgpr_workgroup_id_z 0
		.amdhsa_system_sgpr_workgroup_info 0
		.amdhsa_system_vgpr_workitem_id 0
		.amdhsa_next_free_vgpr 7
		.amdhsa_next_free_sgpr 7
		.amdhsa_reserve_vcc 1
		.amdhsa_reserve_flat_scratch 0
		.amdhsa_float_round_mode_32 0
		.amdhsa_float_round_mode_16_64 0
		.amdhsa_float_denorm_mode_32 3
		.amdhsa_float_denorm_mode_16_64 3
		.amdhsa_dx10_clamp 1
		.amdhsa_ieee_mode 1
		.amdhsa_fp16_overflow 0
		.amdhsa_exception_fp_ieee_invalid_op 0
		.amdhsa_exception_fp_denorm_src 0
		.amdhsa_exception_fp_ieee_div_zero 0
		.amdhsa_exception_fp_ieee_overflow 0
		.amdhsa_exception_fp_ieee_underflow 0
		.amdhsa_exception_fp_ieee_inexact 0
		.amdhsa_exception_int_div_zero 0
	.end_amdhsa_kernel
	.section	.text._Z17shuffle_up_kernelILj32ELj128E12hip_bfloat16EvPT1_S2_,"axG",@progbits,_Z17shuffle_up_kernelILj32ELj128E12hip_bfloat16EvPT1_S2_,comdat
.Lfunc_end34:
	.size	_Z17shuffle_up_kernelILj32ELj128E12hip_bfloat16EvPT1_S2_, .Lfunc_end34-_Z17shuffle_up_kernelILj32ELj128E12hip_bfloat16EvPT1_S2_
                                        ; -- End function
	.set _Z17shuffle_up_kernelILj32ELj128E12hip_bfloat16EvPT1_S2_.num_vgpr, 7
	.set _Z17shuffle_up_kernelILj32ELj128E12hip_bfloat16EvPT1_S2_.num_agpr, 0
	.set _Z17shuffle_up_kernelILj32ELj128E12hip_bfloat16EvPT1_S2_.numbered_sgpr, 7
	.set _Z17shuffle_up_kernelILj32ELj128E12hip_bfloat16EvPT1_S2_.num_named_barrier, 0
	.set _Z17shuffle_up_kernelILj32ELj128E12hip_bfloat16EvPT1_S2_.private_seg_size, 0
	.set _Z17shuffle_up_kernelILj32ELj128E12hip_bfloat16EvPT1_S2_.uses_vcc, 1
	.set _Z17shuffle_up_kernelILj32ELj128E12hip_bfloat16EvPT1_S2_.uses_flat_scratch, 0
	.set _Z17shuffle_up_kernelILj32ELj128E12hip_bfloat16EvPT1_S2_.has_dyn_sized_stack, 0
	.set _Z17shuffle_up_kernelILj32ELj128E12hip_bfloat16EvPT1_S2_.has_recursion, 0
	.set _Z17shuffle_up_kernelILj32ELj128E12hip_bfloat16EvPT1_S2_.has_indirect_call, 0
	.section	.AMDGPU.csdata,"",@progbits
; Kernel info:
; codeLenInByte = 2656
; TotalNumSgprs: 11
; NumVgprs: 7
; ScratchSize: 0
; MemoryBound: 1
; FloatMode: 240
; IeeeMode: 1
; LDSByteSize: 64 bytes/workgroup (compile time only)
; SGPRBlocks: 1
; VGPRBlocks: 1
; NumSGPRsForWavesPerEU: 11
; NumVGPRsForWavesPerEU: 7
; Occupancy: 10
; WaveLimiterHint : 1
; COMPUTE_PGM_RSRC2:SCRATCH_EN: 0
; COMPUTE_PGM_RSRC2:USER_SGPR: 6
; COMPUTE_PGM_RSRC2:TRAP_HANDLER: 0
; COMPUTE_PGM_RSRC2:TGID_X_EN: 1
; COMPUTE_PGM_RSRC2:TGID_Y_EN: 0
; COMPUTE_PGM_RSRC2:TGID_Z_EN: 0
; COMPUTE_PGM_RSRC2:TIDIG_COMP_CNT: 0
	.section	.text._Z17shuffle_up_kernelILj32ELj128E6__halfEvPT1_S2_,"axG",@progbits,_Z17shuffle_up_kernelILj32ELj128E6__halfEvPT1_S2_,comdat
	.protected	_Z17shuffle_up_kernelILj32ELj128E6__halfEvPT1_S2_ ; -- Begin function _Z17shuffle_up_kernelILj32ELj128E6__halfEvPT1_S2_
	.globl	_Z17shuffle_up_kernelILj32ELj128E6__halfEvPT1_S2_
	.p2align	8
	.type	_Z17shuffle_up_kernelILj32ELj128E6__halfEvPT1_S2_,@function
_Z17shuffle_up_kernelILj32ELj128E6__halfEvPT1_S2_: ; @_Z17shuffle_up_kernelILj32ELj128E6__halfEvPT1_S2_
; %bb.0:
	s_load_dwordx4 s[0:3], s[4:5], 0x0
	v_lshlrev_b32_e32 v1, 7, v0
	v_lshl_or_b32 v1, s6, 12, v1
	v_mov_b32_e32 v2, 0
	v_lshlrev_b64 v[1:2], 1, v[1:2]
	s_waitcnt lgkmcnt(0)
	v_mov_b32_e32 v4, s1
	v_add_co_u32_e32 v3, vcc, s0, v1
	v_addc_co_u32_e32 v4, vcc, v4, v2, vcc
	global_load_dword v5, v[3:4], off offset:252
	v_mov_b32_e32 v6, s3
	v_add_co_u32_e32 v1, vcc, s2, v1
	v_addc_co_u32_e32 v2, vcc, v6, v2, vcc
	v_cmp_ne_u32_e32 vcc, 0, v0
	s_waitcnt vmcnt(0)
	global_store_short v[1:2], v5, off offset:254
	global_load_ushort v6, v[3:4], off offset:250
	s_waitcnt vmcnt(0)
	global_store_short v[1:2], v6, off offset:252
	global_load_ushort v6, v[3:4], off offset:248
	s_waitcnt vmcnt(0)
	global_store_short v[1:2], v6, off offset:250
	global_load_ushort v6, v[3:4], off offset:246
	s_waitcnt vmcnt(0)
	global_store_short v[1:2], v6, off offset:248
	global_load_ushort v6, v[3:4], off offset:244
	s_waitcnt vmcnt(0)
	global_store_short v[1:2], v6, off offset:246
	global_load_ushort v6, v[3:4], off offset:242
	s_waitcnt vmcnt(0)
	global_store_short v[1:2], v6, off offset:244
	global_load_ushort v6, v[3:4], off offset:240
	s_waitcnt vmcnt(0)
	global_store_short v[1:2], v6, off offset:242
	global_load_ushort v6, v[3:4], off offset:238
	s_waitcnt vmcnt(0)
	global_store_short v[1:2], v6, off offset:240
	global_load_ushort v6, v[3:4], off offset:236
	s_waitcnt vmcnt(0)
	global_store_short v[1:2], v6, off offset:238
	global_load_ushort v6, v[3:4], off offset:234
	s_waitcnt vmcnt(0)
	global_store_short v[1:2], v6, off offset:236
	global_load_ushort v6, v[3:4], off offset:232
	s_waitcnt vmcnt(0)
	global_store_short v[1:2], v6, off offset:234
	global_load_ushort v6, v[3:4], off offset:230
	s_waitcnt vmcnt(0)
	global_store_short v[1:2], v6, off offset:232
	global_load_ushort v6, v[3:4], off offset:228
	s_waitcnt vmcnt(0)
	global_store_short v[1:2], v6, off offset:230
	global_load_ushort v6, v[3:4], off offset:226
	s_waitcnt vmcnt(0)
	global_store_short v[1:2], v6, off offset:228
	global_load_ushort v6, v[3:4], off offset:224
	s_waitcnt vmcnt(0)
	global_store_short v[1:2], v6, off offset:226
	global_load_ushort v6, v[3:4], off offset:222
	s_waitcnt vmcnt(0)
	global_store_short v[1:2], v6, off offset:224
	global_load_ushort v6, v[3:4], off offset:220
	s_waitcnt vmcnt(0)
	global_store_short v[1:2], v6, off offset:222
	global_load_ushort v6, v[3:4], off offset:218
	s_waitcnt vmcnt(0)
	global_store_short v[1:2], v6, off offset:220
	global_load_ushort v6, v[3:4], off offset:216
	s_waitcnt vmcnt(0)
	global_store_short v[1:2], v6, off offset:218
	global_load_ushort v6, v[3:4], off offset:214
	s_waitcnt vmcnt(0)
	global_store_short v[1:2], v6, off offset:216
	global_load_ushort v6, v[3:4], off offset:212
	s_waitcnt vmcnt(0)
	global_store_short v[1:2], v6, off offset:214
	global_load_ushort v6, v[3:4], off offset:210
	s_waitcnt vmcnt(0)
	global_store_short v[1:2], v6, off offset:212
	global_load_ushort v6, v[3:4], off offset:208
	s_waitcnt vmcnt(0)
	global_store_short v[1:2], v6, off offset:210
	global_load_ushort v6, v[3:4], off offset:206
	s_waitcnt vmcnt(0)
	global_store_short v[1:2], v6, off offset:208
	global_load_ushort v6, v[3:4], off offset:204
	s_waitcnt vmcnt(0)
	global_store_short v[1:2], v6, off offset:206
	global_load_ushort v6, v[3:4], off offset:202
	s_waitcnt vmcnt(0)
	global_store_short v[1:2], v6, off offset:204
	global_load_ushort v6, v[3:4], off offset:200
	s_waitcnt vmcnt(0)
	global_store_short v[1:2], v6, off offset:202
	global_load_ushort v6, v[3:4], off offset:198
	s_waitcnt vmcnt(0)
	global_store_short v[1:2], v6, off offset:200
	global_load_ushort v6, v[3:4], off offset:196
	s_waitcnt vmcnt(0)
	global_store_short v[1:2], v6, off offset:198
	global_load_ushort v6, v[3:4], off offset:194
	s_waitcnt vmcnt(0)
	global_store_short v[1:2], v6, off offset:196
	global_load_ushort v6, v[3:4], off offset:192
	s_waitcnt vmcnt(0)
	global_store_short v[1:2], v6, off offset:194
	global_load_ushort v6, v[3:4], off offset:190
	s_waitcnt vmcnt(0)
	global_store_short v[1:2], v6, off offset:192
	global_load_ushort v6, v[3:4], off offset:188
	s_waitcnt vmcnt(0)
	global_store_short v[1:2], v6, off offset:190
	global_load_ushort v6, v[3:4], off offset:186
	s_waitcnt vmcnt(0)
	global_store_short v[1:2], v6, off offset:188
	global_load_ushort v6, v[3:4], off offset:184
	s_waitcnt vmcnt(0)
	global_store_short v[1:2], v6, off offset:186
	global_load_ushort v6, v[3:4], off offset:182
	s_waitcnt vmcnt(0)
	global_store_short v[1:2], v6, off offset:184
	global_load_ushort v6, v[3:4], off offset:180
	s_waitcnt vmcnt(0)
	global_store_short v[1:2], v6, off offset:182
	global_load_ushort v6, v[3:4], off offset:178
	s_waitcnt vmcnt(0)
	global_store_short v[1:2], v6, off offset:180
	global_load_ushort v6, v[3:4], off offset:176
	s_waitcnt vmcnt(0)
	global_store_short v[1:2], v6, off offset:178
	global_load_ushort v6, v[3:4], off offset:174
	s_waitcnt vmcnt(0)
	global_store_short v[1:2], v6, off offset:176
	global_load_ushort v6, v[3:4], off offset:172
	s_waitcnt vmcnt(0)
	global_store_short v[1:2], v6, off offset:174
	global_load_ushort v6, v[3:4], off offset:170
	s_waitcnt vmcnt(0)
	global_store_short v[1:2], v6, off offset:172
	global_load_ushort v6, v[3:4], off offset:168
	s_waitcnt vmcnt(0)
	global_store_short v[1:2], v6, off offset:170
	global_load_ushort v6, v[3:4], off offset:166
	s_waitcnt vmcnt(0)
	global_store_short v[1:2], v6, off offset:168
	global_load_ushort v6, v[3:4], off offset:164
	s_waitcnt vmcnt(0)
	global_store_short v[1:2], v6, off offset:166
	global_load_ushort v6, v[3:4], off offset:162
	s_waitcnt vmcnt(0)
	global_store_short v[1:2], v6, off offset:164
	global_load_ushort v6, v[3:4], off offset:160
	s_waitcnt vmcnt(0)
	global_store_short v[1:2], v6, off offset:162
	global_load_ushort v6, v[3:4], off offset:158
	s_waitcnt vmcnt(0)
	global_store_short v[1:2], v6, off offset:160
	global_load_ushort v6, v[3:4], off offset:156
	s_waitcnt vmcnt(0)
	global_store_short v[1:2], v6, off offset:158
	global_load_ushort v6, v[3:4], off offset:154
	s_waitcnt vmcnt(0)
	global_store_short v[1:2], v6, off offset:156
	global_load_ushort v6, v[3:4], off offset:152
	s_waitcnt vmcnt(0)
	global_store_short v[1:2], v6, off offset:154
	global_load_ushort v6, v[3:4], off offset:150
	s_waitcnt vmcnt(0)
	global_store_short v[1:2], v6, off offset:152
	global_load_ushort v6, v[3:4], off offset:148
	s_waitcnt vmcnt(0)
	global_store_short v[1:2], v6, off offset:150
	global_load_ushort v6, v[3:4], off offset:146
	s_waitcnt vmcnt(0)
	global_store_short v[1:2], v6, off offset:148
	global_load_ushort v6, v[3:4], off offset:144
	s_waitcnt vmcnt(0)
	global_store_short v[1:2], v6, off offset:146
	global_load_ushort v6, v[3:4], off offset:142
	s_waitcnt vmcnt(0)
	global_store_short v[1:2], v6, off offset:144
	global_load_ushort v6, v[3:4], off offset:140
	s_waitcnt vmcnt(0)
	global_store_short v[1:2], v6, off offset:142
	global_load_ushort v6, v[3:4], off offset:138
	s_waitcnt vmcnt(0)
	global_store_short v[1:2], v6, off offset:140
	global_load_ushort v6, v[3:4], off offset:136
	s_waitcnt vmcnt(0)
	global_store_short v[1:2], v6, off offset:138
	global_load_ushort v6, v[3:4], off offset:134
	s_waitcnt vmcnt(0)
	global_store_short v[1:2], v6, off offset:136
	global_load_ushort v6, v[3:4], off offset:132
	s_waitcnt vmcnt(0)
	global_store_short v[1:2], v6, off offset:134
	global_load_ushort v6, v[3:4], off offset:130
	s_waitcnt vmcnt(0)
	global_store_short v[1:2], v6, off offset:132
	global_load_ushort v6, v[3:4], off offset:128
	s_waitcnt vmcnt(0)
	global_store_short v[1:2], v6, off offset:130
	global_load_ushort v6, v[3:4], off offset:126
	s_waitcnt vmcnt(0)
	global_store_short v[1:2], v6, off offset:128
	global_load_ushort v6, v[3:4], off offset:124
	s_waitcnt vmcnt(0)
	global_store_short v[1:2], v6, off offset:126
	global_load_ushort v6, v[3:4], off offset:122
	s_waitcnt vmcnt(0)
	global_store_short v[1:2], v6, off offset:124
	global_load_ushort v6, v[3:4], off offset:120
	s_waitcnt vmcnt(0)
	global_store_short v[1:2], v6, off offset:122
	global_load_ushort v6, v[3:4], off offset:118
	s_waitcnt vmcnt(0)
	global_store_short v[1:2], v6, off offset:120
	global_load_ushort v6, v[3:4], off offset:116
	s_waitcnt vmcnt(0)
	global_store_short v[1:2], v6, off offset:118
	global_load_ushort v6, v[3:4], off offset:114
	s_waitcnt vmcnt(0)
	global_store_short v[1:2], v6, off offset:116
	global_load_ushort v6, v[3:4], off offset:112
	s_waitcnt vmcnt(0)
	global_store_short v[1:2], v6, off offset:114
	global_load_ushort v6, v[3:4], off offset:110
	s_waitcnt vmcnt(0)
	global_store_short v[1:2], v6, off offset:112
	global_load_ushort v6, v[3:4], off offset:108
	s_waitcnt vmcnt(0)
	global_store_short v[1:2], v6, off offset:110
	global_load_ushort v6, v[3:4], off offset:106
	s_waitcnt vmcnt(0)
	global_store_short v[1:2], v6, off offset:108
	global_load_ushort v6, v[3:4], off offset:104
	s_waitcnt vmcnt(0)
	global_store_short v[1:2], v6, off offset:106
	global_load_ushort v6, v[3:4], off offset:102
	s_waitcnt vmcnt(0)
	global_store_short v[1:2], v6, off offset:104
	global_load_ushort v6, v[3:4], off offset:100
	s_waitcnt vmcnt(0)
	global_store_short v[1:2], v6, off offset:102
	global_load_ushort v6, v[3:4], off offset:98
	s_waitcnt vmcnt(0)
	global_store_short v[1:2], v6, off offset:100
	global_load_ushort v6, v[3:4], off offset:96
	s_waitcnt vmcnt(0)
	global_store_short v[1:2], v6, off offset:98
	global_load_ushort v6, v[3:4], off offset:94
	s_waitcnt vmcnt(0)
	global_store_short v[1:2], v6, off offset:96
	global_load_ushort v6, v[3:4], off offset:92
	s_waitcnt vmcnt(0)
	global_store_short v[1:2], v6, off offset:94
	global_load_ushort v6, v[3:4], off offset:90
	s_waitcnt vmcnt(0)
	global_store_short v[1:2], v6, off offset:92
	global_load_ushort v6, v[3:4], off offset:88
	s_waitcnt vmcnt(0)
	global_store_short v[1:2], v6, off offset:90
	global_load_ushort v6, v[3:4], off offset:86
	s_waitcnt vmcnt(0)
	global_store_short v[1:2], v6, off offset:88
	global_load_ushort v6, v[3:4], off offset:84
	s_waitcnt vmcnt(0)
	global_store_short v[1:2], v6, off offset:86
	global_load_ushort v6, v[3:4], off offset:82
	s_waitcnt vmcnt(0)
	global_store_short v[1:2], v6, off offset:84
	global_load_ushort v6, v[3:4], off offset:80
	s_waitcnt vmcnt(0)
	global_store_short v[1:2], v6, off offset:82
	global_load_ushort v6, v[3:4], off offset:78
	s_waitcnt vmcnt(0)
	global_store_short v[1:2], v6, off offset:80
	global_load_ushort v6, v[3:4], off offset:76
	s_waitcnt vmcnt(0)
	global_store_short v[1:2], v6, off offset:78
	global_load_ushort v6, v[3:4], off offset:74
	s_waitcnt vmcnt(0)
	global_store_short v[1:2], v6, off offset:76
	global_load_ushort v6, v[3:4], off offset:72
	s_waitcnt vmcnt(0)
	global_store_short v[1:2], v6, off offset:74
	global_load_ushort v6, v[3:4], off offset:70
	s_waitcnt vmcnt(0)
	global_store_short v[1:2], v6, off offset:72
	global_load_ushort v6, v[3:4], off offset:68
	s_waitcnt vmcnt(0)
	global_store_short v[1:2], v6, off offset:70
	global_load_ushort v6, v[3:4], off offset:66
	s_waitcnt vmcnt(0)
	global_store_short v[1:2], v6, off offset:68
	global_load_ushort v6, v[3:4], off offset:64
	s_waitcnt vmcnt(0)
	global_store_short v[1:2], v6, off offset:66
	global_load_ushort v6, v[3:4], off offset:62
	s_waitcnt vmcnt(0)
	global_store_short v[1:2], v6, off offset:64
	global_load_ushort v6, v[3:4], off offset:60
	s_waitcnt vmcnt(0)
	global_store_short v[1:2], v6, off offset:62
	global_load_ushort v6, v[3:4], off offset:58
	s_waitcnt vmcnt(0)
	global_store_short v[1:2], v6, off offset:60
	global_load_ushort v6, v[3:4], off offset:56
	s_waitcnt vmcnt(0)
	global_store_short v[1:2], v6, off offset:58
	global_load_ushort v6, v[3:4], off offset:54
	s_waitcnt vmcnt(0)
	global_store_short v[1:2], v6, off offset:56
	global_load_ushort v6, v[3:4], off offset:52
	s_waitcnt vmcnt(0)
	global_store_short v[1:2], v6, off offset:54
	global_load_ushort v6, v[3:4], off offset:50
	s_waitcnt vmcnt(0)
	global_store_short v[1:2], v6, off offset:52
	global_load_ushort v6, v[3:4], off offset:48
	s_waitcnt vmcnt(0)
	global_store_short v[1:2], v6, off offset:50
	global_load_ushort v6, v[3:4], off offset:46
	s_waitcnt vmcnt(0)
	global_store_short v[1:2], v6, off offset:48
	global_load_ushort v6, v[3:4], off offset:44
	s_waitcnt vmcnt(0)
	global_store_short v[1:2], v6, off offset:46
	global_load_ushort v6, v[3:4], off offset:42
	s_waitcnt vmcnt(0)
	global_store_short v[1:2], v6, off offset:44
	global_load_ushort v6, v[3:4], off offset:40
	s_waitcnt vmcnt(0)
	global_store_short v[1:2], v6, off offset:42
	global_load_ushort v6, v[3:4], off offset:38
	s_waitcnt vmcnt(0)
	global_store_short v[1:2], v6, off offset:40
	global_load_ushort v6, v[3:4], off offset:36
	s_waitcnt vmcnt(0)
	global_store_short v[1:2], v6, off offset:38
	global_load_ushort v6, v[3:4], off offset:34
	s_waitcnt vmcnt(0)
	global_store_short v[1:2], v6, off offset:36
	global_load_ushort v6, v[3:4], off offset:32
	s_waitcnt vmcnt(0)
	global_store_short v[1:2], v6, off offset:34
	global_load_ushort v6, v[3:4], off offset:30
	s_waitcnt vmcnt(0)
	global_store_short v[1:2], v6, off offset:32
	global_load_ushort v6, v[3:4], off offset:28
	s_waitcnt vmcnt(0)
	global_store_short v[1:2], v6, off offset:30
	global_load_ushort v6, v[3:4], off offset:26
	s_waitcnt vmcnt(0)
	global_store_short v[1:2], v6, off offset:28
	global_load_ushort v6, v[3:4], off offset:24
	s_waitcnt vmcnt(0)
	global_store_short v[1:2], v6, off offset:26
	global_load_ushort v6, v[3:4], off offset:22
	s_waitcnt vmcnt(0)
	global_store_short v[1:2], v6, off offset:24
	global_load_ushort v6, v[3:4], off offset:20
	s_waitcnt vmcnt(0)
	global_store_short v[1:2], v6, off offset:22
	global_load_ushort v6, v[3:4], off offset:18
	s_waitcnt vmcnt(0)
	global_store_short v[1:2], v6, off offset:20
	global_load_ushort v6, v[3:4], off offset:16
	s_waitcnt vmcnt(0)
	global_store_short v[1:2], v6, off offset:18
	global_load_ushort v6, v[3:4], off offset:14
	s_waitcnt vmcnt(0)
	global_store_short v[1:2], v6, off offset:16
	global_load_ushort v6, v[3:4], off offset:12
	s_waitcnt vmcnt(0)
	global_store_short v[1:2], v6, off offset:14
	global_load_ushort v6, v[3:4], off offset:10
	s_waitcnt vmcnt(0)
	global_store_short v[1:2], v6, off offset:12
	global_load_ushort v6, v[3:4], off offset:8
	s_waitcnt vmcnt(0)
	global_store_short v[1:2], v6, off offset:10
	global_load_ushort v6, v[3:4], off offset:6
	s_waitcnt vmcnt(0)
	global_store_short v[1:2], v6, off offset:8
	global_load_ushort v6, v[3:4], off offset:4
	s_waitcnt vmcnt(0)
	global_store_short v[1:2], v6, off offset:6
	global_load_ushort v6, v[3:4], off offset:2
	s_waitcnt vmcnt(0)
	global_store_short v[1:2], v6, off offset:4
	global_load_ushort v4, v[3:4], off
	v_lshlrev_b32_e32 v3, 1, v0
	ds_write_b16_d16_hi v3, v5
	s_waitcnt vmcnt(0)
	global_store_short v[1:2], v4, off offset:2
	s_waitcnt lgkmcnt(0)
	; wave barrier
	s_and_saveexec_b64 s[0:1], vcc
	s_cbranch_execz .LBB35_2
; %bb.1:
	v_add_u32_e32 v0, -2, v3
	ds_read_u16 v0, v0
	s_waitcnt lgkmcnt(0)
	global_store_short v[1:2], v0, off
.LBB35_2:
	s_endpgm
	.section	.rodata,"a",@progbits
	.p2align	6, 0x0
	.amdhsa_kernel _Z17shuffle_up_kernelILj32ELj128E6__halfEvPT1_S2_
		.amdhsa_group_segment_fixed_size 64
		.amdhsa_private_segment_fixed_size 0
		.amdhsa_kernarg_size 16
		.amdhsa_user_sgpr_count 6
		.amdhsa_user_sgpr_private_segment_buffer 1
		.amdhsa_user_sgpr_dispatch_ptr 0
		.amdhsa_user_sgpr_queue_ptr 0
		.amdhsa_user_sgpr_kernarg_segment_ptr 1
		.amdhsa_user_sgpr_dispatch_id 0
		.amdhsa_user_sgpr_flat_scratch_init 0
		.amdhsa_user_sgpr_private_segment_size 0
		.amdhsa_uses_dynamic_stack 0
		.amdhsa_system_sgpr_private_segment_wavefront_offset 0
		.amdhsa_system_sgpr_workgroup_id_x 1
		.amdhsa_system_sgpr_workgroup_id_y 0
		.amdhsa_system_sgpr_workgroup_id_z 0
		.amdhsa_system_sgpr_workgroup_info 0
		.amdhsa_system_vgpr_workitem_id 0
		.amdhsa_next_free_vgpr 7
		.amdhsa_next_free_sgpr 7
		.amdhsa_reserve_vcc 1
		.amdhsa_reserve_flat_scratch 0
		.amdhsa_float_round_mode_32 0
		.amdhsa_float_round_mode_16_64 0
		.amdhsa_float_denorm_mode_32 3
		.amdhsa_float_denorm_mode_16_64 3
		.amdhsa_dx10_clamp 1
		.amdhsa_ieee_mode 1
		.amdhsa_fp16_overflow 0
		.amdhsa_exception_fp_ieee_invalid_op 0
		.amdhsa_exception_fp_denorm_src 0
		.amdhsa_exception_fp_ieee_div_zero 0
		.amdhsa_exception_fp_ieee_overflow 0
		.amdhsa_exception_fp_ieee_underflow 0
		.amdhsa_exception_fp_ieee_inexact 0
		.amdhsa_exception_int_div_zero 0
	.end_amdhsa_kernel
	.section	.text._Z17shuffle_up_kernelILj32ELj128E6__halfEvPT1_S2_,"axG",@progbits,_Z17shuffle_up_kernelILj32ELj128E6__halfEvPT1_S2_,comdat
.Lfunc_end35:
	.size	_Z17shuffle_up_kernelILj32ELj128E6__halfEvPT1_S2_, .Lfunc_end35-_Z17shuffle_up_kernelILj32ELj128E6__halfEvPT1_S2_
                                        ; -- End function
	.set _Z17shuffle_up_kernelILj32ELj128E6__halfEvPT1_S2_.num_vgpr, 7
	.set _Z17shuffle_up_kernelILj32ELj128E6__halfEvPT1_S2_.num_agpr, 0
	.set _Z17shuffle_up_kernelILj32ELj128E6__halfEvPT1_S2_.numbered_sgpr, 7
	.set _Z17shuffle_up_kernelILj32ELj128E6__halfEvPT1_S2_.num_named_barrier, 0
	.set _Z17shuffle_up_kernelILj32ELj128E6__halfEvPT1_S2_.private_seg_size, 0
	.set _Z17shuffle_up_kernelILj32ELj128E6__halfEvPT1_S2_.uses_vcc, 1
	.set _Z17shuffle_up_kernelILj32ELj128E6__halfEvPT1_S2_.uses_flat_scratch, 0
	.set _Z17shuffle_up_kernelILj32ELj128E6__halfEvPT1_S2_.has_dyn_sized_stack, 0
	.set _Z17shuffle_up_kernelILj32ELj128E6__halfEvPT1_S2_.has_recursion, 0
	.set _Z17shuffle_up_kernelILj32ELj128E6__halfEvPT1_S2_.has_indirect_call, 0
	.section	.AMDGPU.csdata,"",@progbits
; Kernel info:
; codeLenInByte = 2656
; TotalNumSgprs: 11
; NumVgprs: 7
; ScratchSize: 0
; MemoryBound: 1
; FloatMode: 240
; IeeeMode: 1
; LDSByteSize: 64 bytes/workgroup (compile time only)
; SGPRBlocks: 1
; VGPRBlocks: 1
; NumSGPRsForWavesPerEU: 11
; NumVGPRsForWavesPerEU: 7
; Occupancy: 10
; WaveLimiterHint : 1
; COMPUTE_PGM_RSRC2:SCRATCH_EN: 0
; COMPUTE_PGM_RSRC2:USER_SGPR: 6
; COMPUTE_PGM_RSRC2:TRAP_HANDLER: 0
; COMPUTE_PGM_RSRC2:TGID_X_EN: 1
; COMPUTE_PGM_RSRC2:TGID_Y_EN: 0
; COMPUTE_PGM_RSRC2:TGID_Z_EN: 0
; COMPUTE_PGM_RSRC2:TIDIG_COMP_CNT: 0
	.section	.text._Z17shuffle_up_kernelILj32ELj128EfEvPT1_S1_,"axG",@progbits,_Z17shuffle_up_kernelILj32ELj128EfEvPT1_S1_,comdat
	.protected	_Z17shuffle_up_kernelILj32ELj128EfEvPT1_S1_ ; -- Begin function _Z17shuffle_up_kernelILj32ELj128EfEvPT1_S1_
	.globl	_Z17shuffle_up_kernelILj32ELj128EfEvPT1_S1_
	.p2align	8
	.type	_Z17shuffle_up_kernelILj32ELj128EfEvPT1_S1_,@function
_Z17shuffle_up_kernelILj32ELj128EfEvPT1_S1_: ; @_Z17shuffle_up_kernelILj32ELj128EfEvPT1_S1_
; %bb.0:
	s_load_dwordx4 s[0:3], s[4:5], 0x0
	v_lshlrev_b32_e32 v1, 7, v0
	v_lshl_or_b32 v1, s6, 12, v1
	v_mov_b32_e32 v2, 0
	v_lshlrev_b64 v[1:2], 2, v[1:2]
	s_waitcnt lgkmcnt(0)
	v_mov_b32_e32 v4, s1
	v_add_co_u32_e32 v3, vcc, s0, v1
	v_addc_co_u32_e32 v4, vcc, v4, v2, vcc
	global_load_dwordx2 v[5:6], v[3:4], off offset:504
	v_mov_b32_e32 v7, s3
	v_add_co_u32_e32 v1, vcc, s2, v1
	v_addc_co_u32_e32 v2, vcc, v7, v2, vcc
	v_cmp_ne_u32_e32 vcc, 0, v0
	s_waitcnt vmcnt(0)
	global_store_dword v[1:2], v5, off offset:508
	global_load_dword v5, v[3:4], off offset:500
	s_waitcnt vmcnt(0)
	global_store_dword v[1:2], v5, off offset:504
	global_load_dword v5, v[3:4], off offset:496
	;; [unrolled: 3-line block ×125, first 2 shown]
	s_waitcnt vmcnt(0)
	global_store_dword v[1:2], v5, off offset:8
	global_load_dword v4, v[3:4], off
	v_lshlrev_b32_e32 v3, 2, v0
	ds_write_b32 v3, v6
	s_waitcnt vmcnt(0)
	global_store_dword v[1:2], v4, off offset:4
	s_waitcnt lgkmcnt(0)
	; wave barrier
	s_and_saveexec_b64 s[0:1], vcc
	s_cbranch_execz .LBB36_2
; %bb.1:
	v_add_u32_e32 v0, -4, v3
	ds_read_b32 v0, v0
	s_waitcnt lgkmcnt(0)
	global_store_dword v[1:2], v0, off
.LBB36_2:
	s_endpgm
	.section	.rodata,"a",@progbits
	.p2align	6, 0x0
	.amdhsa_kernel _Z17shuffle_up_kernelILj32ELj128EfEvPT1_S1_
		.amdhsa_group_segment_fixed_size 128
		.amdhsa_private_segment_fixed_size 0
		.amdhsa_kernarg_size 16
		.amdhsa_user_sgpr_count 6
		.amdhsa_user_sgpr_private_segment_buffer 1
		.amdhsa_user_sgpr_dispatch_ptr 0
		.amdhsa_user_sgpr_queue_ptr 0
		.amdhsa_user_sgpr_kernarg_segment_ptr 1
		.amdhsa_user_sgpr_dispatch_id 0
		.amdhsa_user_sgpr_flat_scratch_init 0
		.amdhsa_user_sgpr_private_segment_size 0
		.amdhsa_uses_dynamic_stack 0
		.amdhsa_system_sgpr_private_segment_wavefront_offset 0
		.amdhsa_system_sgpr_workgroup_id_x 1
		.amdhsa_system_sgpr_workgroup_id_y 0
		.amdhsa_system_sgpr_workgroup_id_z 0
		.amdhsa_system_sgpr_workgroup_info 0
		.amdhsa_system_vgpr_workitem_id 0
		.amdhsa_next_free_vgpr 8
		.amdhsa_next_free_sgpr 7
		.amdhsa_reserve_vcc 1
		.amdhsa_reserve_flat_scratch 0
		.amdhsa_float_round_mode_32 0
		.amdhsa_float_round_mode_16_64 0
		.amdhsa_float_denorm_mode_32 3
		.amdhsa_float_denorm_mode_16_64 3
		.amdhsa_dx10_clamp 1
		.amdhsa_ieee_mode 1
		.amdhsa_fp16_overflow 0
		.amdhsa_exception_fp_ieee_invalid_op 0
		.amdhsa_exception_fp_denorm_src 0
		.amdhsa_exception_fp_ieee_div_zero 0
		.amdhsa_exception_fp_ieee_overflow 0
		.amdhsa_exception_fp_ieee_underflow 0
		.amdhsa_exception_fp_ieee_inexact 0
		.amdhsa_exception_int_div_zero 0
	.end_amdhsa_kernel
	.section	.text._Z17shuffle_up_kernelILj32ELj128EfEvPT1_S1_,"axG",@progbits,_Z17shuffle_up_kernelILj32ELj128EfEvPT1_S1_,comdat
.Lfunc_end36:
	.size	_Z17shuffle_up_kernelILj32ELj128EfEvPT1_S1_, .Lfunc_end36-_Z17shuffle_up_kernelILj32ELj128EfEvPT1_S1_
                                        ; -- End function
	.set _Z17shuffle_up_kernelILj32ELj128EfEvPT1_S1_.num_vgpr, 8
	.set _Z17shuffle_up_kernelILj32ELj128EfEvPT1_S1_.num_agpr, 0
	.set _Z17shuffle_up_kernelILj32ELj128EfEvPT1_S1_.numbered_sgpr, 7
	.set _Z17shuffle_up_kernelILj32ELj128EfEvPT1_S1_.num_named_barrier, 0
	.set _Z17shuffle_up_kernelILj32ELj128EfEvPT1_S1_.private_seg_size, 0
	.set _Z17shuffle_up_kernelILj32ELj128EfEvPT1_S1_.uses_vcc, 1
	.set _Z17shuffle_up_kernelILj32ELj128EfEvPT1_S1_.uses_flat_scratch, 0
	.set _Z17shuffle_up_kernelILj32ELj128EfEvPT1_S1_.has_dyn_sized_stack, 0
	.set _Z17shuffle_up_kernelILj32ELj128EfEvPT1_S1_.has_recursion, 0
	.set _Z17shuffle_up_kernelILj32ELj128EfEvPT1_S1_.has_indirect_call, 0
	.section	.AMDGPU.csdata,"",@progbits
; Kernel info:
; codeLenInByte = 2656
; TotalNumSgprs: 11
; NumVgprs: 8
; ScratchSize: 0
; MemoryBound: 1
; FloatMode: 240
; IeeeMode: 1
; LDSByteSize: 128 bytes/workgroup (compile time only)
; SGPRBlocks: 1
; VGPRBlocks: 1
; NumSGPRsForWavesPerEU: 11
; NumVGPRsForWavesPerEU: 8
; Occupancy: 10
; WaveLimiterHint : 1
; COMPUTE_PGM_RSRC2:SCRATCH_EN: 0
; COMPUTE_PGM_RSRC2:USER_SGPR: 6
; COMPUTE_PGM_RSRC2:TRAP_HANDLER: 0
; COMPUTE_PGM_RSRC2:TGID_X_EN: 1
; COMPUTE_PGM_RSRC2:TGID_Y_EN: 0
; COMPUTE_PGM_RSRC2:TGID_Z_EN: 0
; COMPUTE_PGM_RSRC2:TIDIG_COMP_CNT: 0
	.section	.text._Z17shuffle_up_kernelILj377ELj128ElEvPT1_S1_,"axG",@progbits,_Z17shuffle_up_kernelILj377ELj128ElEvPT1_S1_,comdat
	.protected	_Z17shuffle_up_kernelILj377ELj128ElEvPT1_S1_ ; -- Begin function _Z17shuffle_up_kernelILj377ELj128ElEvPT1_S1_
	.globl	_Z17shuffle_up_kernelILj377ELj128ElEvPT1_S1_
	.p2align	8
	.type	_Z17shuffle_up_kernelILj377ELj128ElEvPT1_S1_,@function
_Z17shuffle_up_kernelILj377ELj128ElEvPT1_S1_: ; @_Z17shuffle_up_kernelILj377ELj128ElEvPT1_S1_
; %bb.0:
	s_load_dwordx4 s[0:3], s[4:5], 0x0
	s_mulk_i32 s6, 0x179
	v_add_lshl_u32 v1, s6, v0, 7
	v_mov_b32_e32 v2, 0
	v_lshlrev_b64 v[5:6], 3, v[1:2]
	s_waitcnt lgkmcnt(0)
	v_mov_b32_e32 v1, s1
	v_add_co_u32_e32 v7, vcc, s0, v5
	v_addc_co_u32_e32 v8, vcc, v1, v6, vcc
	global_load_dwordx4 v[1:4], v[7:8], off offset:1008
	v_mov_b32_e32 v9, s3
	v_add_co_u32_e32 v5, vcc, s2, v5
	v_addc_co_u32_e32 v6, vcc, v9, v6, vcc
	v_cmp_ne_u32_e32 vcc, 0, v0
	s_waitcnt vmcnt(0)
	global_store_dwordx2 v[5:6], v[1:2], off offset:1016
	global_load_dwordx2 v[1:2], v[7:8], off offset:1000
	s_waitcnt vmcnt(0)
	global_store_dwordx2 v[5:6], v[1:2], off offset:1008
	global_load_dwordx2 v[1:2], v[7:8], off offset:992
	;; [unrolled: 3-line block ×125, first 2 shown]
	s_waitcnt vmcnt(0)
	global_store_dwordx2 v[5:6], v[1:2], off offset:16
	global_load_dwordx2 v[7:8], v[7:8], off
	v_lshlrev_b32_e32 v1, 3, v0
	ds_write_b64 v1, v[3:4]
	s_waitcnt vmcnt(0)
	global_store_dwordx2 v[5:6], v[7:8], off offset:8
	s_waitcnt vmcnt(0) lgkmcnt(0)
	s_barrier
	s_and_saveexec_b64 s[0:1], vcc
	s_cbranch_execz .LBB37_2
; %bb.1:
	v_add_u32_e32 v0, -8, v1
	ds_read_b64 v[0:1], v0
	s_waitcnt lgkmcnt(0)
	global_store_dwordx2 v[5:6], v[0:1], off
.LBB37_2:
	s_endpgm
	.section	.rodata,"a",@progbits
	.p2align	6, 0x0
	.amdhsa_kernel _Z17shuffle_up_kernelILj377ELj128ElEvPT1_S1_
		.amdhsa_group_segment_fixed_size 3016
		.amdhsa_private_segment_fixed_size 0
		.amdhsa_kernarg_size 16
		.amdhsa_user_sgpr_count 6
		.amdhsa_user_sgpr_private_segment_buffer 1
		.amdhsa_user_sgpr_dispatch_ptr 0
		.amdhsa_user_sgpr_queue_ptr 0
		.amdhsa_user_sgpr_kernarg_segment_ptr 1
		.amdhsa_user_sgpr_dispatch_id 0
		.amdhsa_user_sgpr_flat_scratch_init 0
		.amdhsa_user_sgpr_private_segment_size 0
		.amdhsa_uses_dynamic_stack 0
		.amdhsa_system_sgpr_private_segment_wavefront_offset 0
		.amdhsa_system_sgpr_workgroup_id_x 1
		.amdhsa_system_sgpr_workgroup_id_y 0
		.amdhsa_system_sgpr_workgroup_id_z 0
		.amdhsa_system_sgpr_workgroup_info 0
		.amdhsa_system_vgpr_workitem_id 0
		.amdhsa_next_free_vgpr 25
		.amdhsa_next_free_sgpr 61
		.amdhsa_reserve_vcc 1
		.amdhsa_reserve_flat_scratch 0
		.amdhsa_float_round_mode_32 0
		.amdhsa_float_round_mode_16_64 0
		.amdhsa_float_denorm_mode_32 3
		.amdhsa_float_denorm_mode_16_64 3
		.amdhsa_dx10_clamp 1
		.amdhsa_ieee_mode 1
		.amdhsa_fp16_overflow 0
		.amdhsa_exception_fp_ieee_invalid_op 0
		.amdhsa_exception_fp_denorm_src 0
		.amdhsa_exception_fp_ieee_div_zero 0
		.amdhsa_exception_fp_ieee_overflow 0
		.amdhsa_exception_fp_ieee_underflow 0
		.amdhsa_exception_fp_ieee_inexact 0
		.amdhsa_exception_int_div_zero 0
	.end_amdhsa_kernel
	.section	.text._Z17shuffle_up_kernelILj377ELj128ElEvPT1_S1_,"axG",@progbits,_Z17shuffle_up_kernelILj377ELj128ElEvPT1_S1_,comdat
.Lfunc_end37:
	.size	_Z17shuffle_up_kernelILj377ELj128ElEvPT1_S1_, .Lfunc_end37-_Z17shuffle_up_kernelILj377ELj128ElEvPT1_S1_
                                        ; -- End function
	.set _Z17shuffle_up_kernelILj377ELj128ElEvPT1_S1_.num_vgpr, 10
	.set _Z17shuffle_up_kernelILj377ELj128ElEvPT1_S1_.num_agpr, 0
	.set _Z17shuffle_up_kernelILj377ELj128ElEvPT1_S1_.numbered_sgpr, 7
	.set _Z17shuffle_up_kernelILj377ELj128ElEvPT1_S1_.num_named_barrier, 0
	.set _Z17shuffle_up_kernelILj377ELj128ElEvPT1_S1_.private_seg_size, 0
	.set _Z17shuffle_up_kernelILj377ELj128ElEvPT1_S1_.uses_vcc, 1
	.set _Z17shuffle_up_kernelILj377ELj128ElEvPT1_S1_.uses_flat_scratch, 0
	.set _Z17shuffle_up_kernelILj377ELj128ElEvPT1_S1_.has_dyn_sized_stack, 0
	.set _Z17shuffle_up_kernelILj377ELj128ElEvPT1_S1_.has_recursion, 0
	.set _Z17shuffle_up_kernelILj377ELj128ElEvPT1_S1_.has_indirect_call, 0
	.section	.AMDGPU.csdata,"",@progbits
; Kernel info:
; codeLenInByte = 2660
; TotalNumSgprs: 11
; NumVgprs: 10
; ScratchSize: 0
; MemoryBound: 1
; FloatMode: 240
; IeeeMode: 1
; LDSByteSize: 3016 bytes/workgroup (compile time only)
; SGPRBlocks: 8
; VGPRBlocks: 6
; NumSGPRsForWavesPerEU: 65
; NumVGPRsForWavesPerEU: 25
; Occupancy: 9
; WaveLimiterHint : 1
; COMPUTE_PGM_RSRC2:SCRATCH_EN: 0
; COMPUTE_PGM_RSRC2:USER_SGPR: 6
; COMPUTE_PGM_RSRC2:TRAP_HANDLER: 0
; COMPUTE_PGM_RSRC2:TGID_X_EN: 1
; COMPUTE_PGM_RSRC2:TGID_Y_EN: 0
; COMPUTE_PGM_RSRC2:TGID_Z_EN: 0
; COMPUTE_PGM_RSRC2:TIDIG_COMP_CNT: 0
	.section	.text._Z17shuffle_up_kernelILj256ELj128ElEvPT1_S1_,"axG",@progbits,_Z17shuffle_up_kernelILj256ELj128ElEvPT1_S1_,comdat
	.protected	_Z17shuffle_up_kernelILj256ELj128ElEvPT1_S1_ ; -- Begin function _Z17shuffle_up_kernelILj256ELj128ElEvPT1_S1_
	.globl	_Z17shuffle_up_kernelILj256ELj128ElEvPT1_S1_
	.p2align	8
	.type	_Z17shuffle_up_kernelILj256ELj128ElEvPT1_S1_,@function
_Z17shuffle_up_kernelILj256ELj128ElEvPT1_S1_: ; @_Z17shuffle_up_kernelILj256ELj128ElEvPT1_S1_
; %bb.0:
	s_load_dwordx4 s[0:3], s[4:5], 0x0
	v_lshlrev_b32_e32 v1, 7, v0
	v_lshl_or_b32 v1, s6, 15, v1
	v_mov_b32_e32 v2, 0
	v_lshlrev_b64 v[1:2], 3, v[1:2]
	s_waitcnt lgkmcnt(0)
	v_mov_b32_e32 v3, s1
	v_add_co_u32_e32 v7, vcc, s0, v1
	v_addc_co_u32_e32 v8, vcc, v3, v2, vcc
	global_load_dwordx4 v[3:6], v[7:8], off offset:1008
	v_mov_b32_e32 v9, s3
	v_add_co_u32_e32 v1, vcc, s2, v1
	v_addc_co_u32_e32 v2, vcc, v9, v2, vcc
	v_cmp_ne_u32_e32 vcc, 0, v0
	s_waitcnt vmcnt(0)
	global_store_dwordx2 v[1:2], v[3:4], off offset:1016
	global_load_dwordx2 v[3:4], v[7:8], off offset:1000
	s_waitcnt vmcnt(0)
	global_store_dwordx2 v[1:2], v[3:4], off offset:1008
	global_load_dwordx2 v[3:4], v[7:8], off offset:992
	;; [unrolled: 3-line block ×125, first 2 shown]
	s_waitcnt vmcnt(0)
	global_store_dwordx2 v[1:2], v[3:4], off offset:16
	global_load_dwordx2 v[7:8], v[7:8], off
	v_lshlrev_b32_e32 v3, 3, v0
	ds_write_b64 v3, v[5:6]
	s_waitcnt vmcnt(0)
	global_store_dwordx2 v[1:2], v[7:8], off offset:8
	s_waitcnt vmcnt(0) lgkmcnt(0)
	s_barrier
	s_and_saveexec_b64 s[0:1], vcc
	s_cbranch_execz .LBB38_2
; %bb.1:
	v_add_u32_e32 v0, -8, v3
	ds_read_b64 v[3:4], v0
	s_waitcnt lgkmcnt(0)
	global_store_dwordx2 v[1:2], v[3:4], off
.LBB38_2:
	s_endpgm
	.section	.rodata,"a",@progbits
	.p2align	6, 0x0
	.amdhsa_kernel _Z17shuffle_up_kernelILj256ELj128ElEvPT1_S1_
		.amdhsa_group_segment_fixed_size 2048
		.amdhsa_private_segment_fixed_size 0
		.amdhsa_kernarg_size 16
		.amdhsa_user_sgpr_count 6
		.amdhsa_user_sgpr_private_segment_buffer 1
		.amdhsa_user_sgpr_dispatch_ptr 0
		.amdhsa_user_sgpr_queue_ptr 0
		.amdhsa_user_sgpr_kernarg_segment_ptr 1
		.amdhsa_user_sgpr_dispatch_id 0
		.amdhsa_user_sgpr_flat_scratch_init 0
		.amdhsa_user_sgpr_private_segment_size 0
		.amdhsa_uses_dynamic_stack 0
		.amdhsa_system_sgpr_private_segment_wavefront_offset 0
		.amdhsa_system_sgpr_workgroup_id_x 1
		.amdhsa_system_sgpr_workgroup_id_y 0
		.amdhsa_system_sgpr_workgroup_id_z 0
		.amdhsa_system_sgpr_workgroup_info 0
		.amdhsa_system_vgpr_workitem_id 0
		.amdhsa_next_free_vgpr 10
		.amdhsa_next_free_sgpr 7
		.amdhsa_reserve_vcc 1
		.amdhsa_reserve_flat_scratch 0
		.amdhsa_float_round_mode_32 0
		.amdhsa_float_round_mode_16_64 0
		.amdhsa_float_denorm_mode_32 3
		.amdhsa_float_denorm_mode_16_64 3
		.amdhsa_dx10_clamp 1
		.amdhsa_ieee_mode 1
		.amdhsa_fp16_overflow 0
		.amdhsa_exception_fp_ieee_invalid_op 0
		.amdhsa_exception_fp_denorm_src 0
		.amdhsa_exception_fp_ieee_div_zero 0
		.amdhsa_exception_fp_ieee_overflow 0
		.amdhsa_exception_fp_ieee_underflow 0
		.amdhsa_exception_fp_ieee_inexact 0
		.amdhsa_exception_int_div_zero 0
	.end_amdhsa_kernel
	.section	.text._Z17shuffle_up_kernelILj256ELj128ElEvPT1_S1_,"axG",@progbits,_Z17shuffle_up_kernelILj256ELj128ElEvPT1_S1_,comdat
.Lfunc_end38:
	.size	_Z17shuffle_up_kernelILj256ELj128ElEvPT1_S1_, .Lfunc_end38-_Z17shuffle_up_kernelILj256ELj128ElEvPT1_S1_
                                        ; -- End function
	.set _Z17shuffle_up_kernelILj256ELj128ElEvPT1_S1_.num_vgpr, 10
	.set _Z17shuffle_up_kernelILj256ELj128ElEvPT1_S1_.num_agpr, 0
	.set _Z17shuffle_up_kernelILj256ELj128ElEvPT1_S1_.numbered_sgpr, 7
	.set _Z17shuffle_up_kernelILj256ELj128ElEvPT1_S1_.num_named_barrier, 0
	.set _Z17shuffle_up_kernelILj256ELj128ElEvPT1_S1_.private_seg_size, 0
	.set _Z17shuffle_up_kernelILj256ELj128ElEvPT1_S1_.uses_vcc, 1
	.set _Z17shuffle_up_kernelILj256ELj128ElEvPT1_S1_.uses_flat_scratch, 0
	.set _Z17shuffle_up_kernelILj256ELj128ElEvPT1_S1_.has_dyn_sized_stack, 0
	.set _Z17shuffle_up_kernelILj256ELj128ElEvPT1_S1_.has_recursion, 0
	.set _Z17shuffle_up_kernelILj256ELj128ElEvPT1_S1_.has_indirect_call, 0
	.section	.AMDGPU.csdata,"",@progbits
; Kernel info:
; codeLenInByte = 2660
; TotalNumSgprs: 11
; NumVgprs: 10
; ScratchSize: 0
; MemoryBound: 1
; FloatMode: 240
; IeeeMode: 1
; LDSByteSize: 2048 bytes/workgroup (compile time only)
; SGPRBlocks: 1
; VGPRBlocks: 2
; NumSGPRsForWavesPerEU: 11
; NumVGPRsForWavesPerEU: 10
; Occupancy: 10
; WaveLimiterHint : 1
; COMPUTE_PGM_RSRC2:SCRATCH_EN: 0
; COMPUTE_PGM_RSRC2:USER_SGPR: 6
; COMPUTE_PGM_RSRC2:TRAP_HANDLER: 0
; COMPUTE_PGM_RSRC2:TGID_X_EN: 1
; COMPUTE_PGM_RSRC2:TGID_Y_EN: 0
; COMPUTE_PGM_RSRC2:TGID_Z_EN: 0
; COMPUTE_PGM_RSRC2:TIDIG_COMP_CNT: 0
	.section	.text._Z17shuffle_up_kernelILj64ELj128ElEvPT1_S1_,"axG",@progbits,_Z17shuffle_up_kernelILj64ELj128ElEvPT1_S1_,comdat
	.protected	_Z17shuffle_up_kernelILj64ELj128ElEvPT1_S1_ ; -- Begin function _Z17shuffle_up_kernelILj64ELj128ElEvPT1_S1_
	.globl	_Z17shuffle_up_kernelILj64ELj128ElEvPT1_S1_
	.p2align	8
	.type	_Z17shuffle_up_kernelILj64ELj128ElEvPT1_S1_,@function
_Z17shuffle_up_kernelILj64ELj128ElEvPT1_S1_: ; @_Z17shuffle_up_kernelILj64ELj128ElEvPT1_S1_
; %bb.0:
	s_load_dwordx4 s[0:3], s[4:5], 0x0
	v_lshlrev_b32_e32 v1, 7, v0
	v_lshl_or_b32 v1, s6, 13, v1
	v_mov_b32_e32 v2, 0
	v_lshlrev_b64 v[1:2], 3, v[1:2]
	s_waitcnt lgkmcnt(0)
	v_mov_b32_e32 v3, s1
	v_add_co_u32_e32 v7, vcc, s0, v1
	v_addc_co_u32_e32 v8, vcc, v3, v2, vcc
	global_load_dwordx4 v[3:6], v[7:8], off offset:1008
	v_mov_b32_e32 v9, s3
	v_add_co_u32_e32 v1, vcc, s2, v1
	v_addc_co_u32_e32 v2, vcc, v9, v2, vcc
	v_cmp_ne_u32_e32 vcc, 0, v0
	s_waitcnt vmcnt(0)
	global_store_dwordx2 v[1:2], v[3:4], off offset:1016
	global_load_dwordx2 v[3:4], v[7:8], off offset:1000
	s_waitcnt vmcnt(0)
	global_store_dwordx2 v[1:2], v[3:4], off offset:1008
	global_load_dwordx2 v[3:4], v[7:8], off offset:992
	;; [unrolled: 3-line block ×125, first 2 shown]
	s_waitcnt vmcnt(0)
	global_store_dwordx2 v[1:2], v[3:4], off offset:16
	global_load_dwordx2 v[7:8], v[7:8], off
	v_lshlrev_b32_e32 v3, 3, v0
	ds_write_b64 v3, v[5:6]
	s_waitcnt vmcnt(0)
	global_store_dwordx2 v[1:2], v[7:8], off offset:8
	s_waitcnt lgkmcnt(0)
	; wave barrier
	s_and_saveexec_b64 s[0:1], vcc
	s_cbranch_execz .LBB39_2
; %bb.1:
	v_add_u32_e32 v0, -8, v3
	ds_read_b64 v[3:4], v0
	s_waitcnt lgkmcnt(0)
	global_store_dwordx2 v[1:2], v[3:4], off
.LBB39_2:
	s_endpgm
	.section	.rodata,"a",@progbits
	.p2align	6, 0x0
	.amdhsa_kernel _Z17shuffle_up_kernelILj64ELj128ElEvPT1_S1_
		.amdhsa_group_segment_fixed_size 512
		.amdhsa_private_segment_fixed_size 0
		.amdhsa_kernarg_size 16
		.amdhsa_user_sgpr_count 6
		.amdhsa_user_sgpr_private_segment_buffer 1
		.amdhsa_user_sgpr_dispatch_ptr 0
		.amdhsa_user_sgpr_queue_ptr 0
		.amdhsa_user_sgpr_kernarg_segment_ptr 1
		.amdhsa_user_sgpr_dispatch_id 0
		.amdhsa_user_sgpr_flat_scratch_init 0
		.amdhsa_user_sgpr_private_segment_size 0
		.amdhsa_uses_dynamic_stack 0
		.amdhsa_system_sgpr_private_segment_wavefront_offset 0
		.amdhsa_system_sgpr_workgroup_id_x 1
		.amdhsa_system_sgpr_workgroup_id_y 0
		.amdhsa_system_sgpr_workgroup_id_z 0
		.amdhsa_system_sgpr_workgroup_info 0
		.amdhsa_system_vgpr_workitem_id 0
		.amdhsa_next_free_vgpr 10
		.amdhsa_next_free_sgpr 7
		.amdhsa_reserve_vcc 1
		.amdhsa_reserve_flat_scratch 0
		.amdhsa_float_round_mode_32 0
		.amdhsa_float_round_mode_16_64 0
		.amdhsa_float_denorm_mode_32 3
		.amdhsa_float_denorm_mode_16_64 3
		.amdhsa_dx10_clamp 1
		.amdhsa_ieee_mode 1
		.amdhsa_fp16_overflow 0
		.amdhsa_exception_fp_ieee_invalid_op 0
		.amdhsa_exception_fp_denorm_src 0
		.amdhsa_exception_fp_ieee_div_zero 0
		.amdhsa_exception_fp_ieee_overflow 0
		.amdhsa_exception_fp_ieee_underflow 0
		.amdhsa_exception_fp_ieee_inexact 0
		.amdhsa_exception_int_div_zero 0
	.end_amdhsa_kernel
	.section	.text._Z17shuffle_up_kernelILj64ELj128ElEvPT1_S1_,"axG",@progbits,_Z17shuffle_up_kernelILj64ELj128ElEvPT1_S1_,comdat
.Lfunc_end39:
	.size	_Z17shuffle_up_kernelILj64ELj128ElEvPT1_S1_, .Lfunc_end39-_Z17shuffle_up_kernelILj64ELj128ElEvPT1_S1_
                                        ; -- End function
	.set _Z17shuffle_up_kernelILj64ELj128ElEvPT1_S1_.num_vgpr, 10
	.set _Z17shuffle_up_kernelILj64ELj128ElEvPT1_S1_.num_agpr, 0
	.set _Z17shuffle_up_kernelILj64ELj128ElEvPT1_S1_.numbered_sgpr, 7
	.set _Z17shuffle_up_kernelILj64ELj128ElEvPT1_S1_.num_named_barrier, 0
	.set _Z17shuffle_up_kernelILj64ELj128ElEvPT1_S1_.private_seg_size, 0
	.set _Z17shuffle_up_kernelILj64ELj128ElEvPT1_S1_.uses_vcc, 1
	.set _Z17shuffle_up_kernelILj64ELj128ElEvPT1_S1_.uses_flat_scratch, 0
	.set _Z17shuffle_up_kernelILj64ELj128ElEvPT1_S1_.has_dyn_sized_stack, 0
	.set _Z17shuffle_up_kernelILj64ELj128ElEvPT1_S1_.has_recursion, 0
	.set _Z17shuffle_up_kernelILj64ELj128ElEvPT1_S1_.has_indirect_call, 0
	.section	.AMDGPU.csdata,"",@progbits
; Kernel info:
; codeLenInByte = 2656
; TotalNumSgprs: 11
; NumVgprs: 10
; ScratchSize: 0
; MemoryBound: 1
; FloatMode: 240
; IeeeMode: 1
; LDSByteSize: 512 bytes/workgroup (compile time only)
; SGPRBlocks: 1
; VGPRBlocks: 2
; NumSGPRsForWavesPerEU: 11
; NumVGPRsForWavesPerEU: 10
; Occupancy: 10
; WaveLimiterHint : 1
; COMPUTE_PGM_RSRC2:SCRATCH_EN: 0
; COMPUTE_PGM_RSRC2:USER_SGPR: 6
; COMPUTE_PGM_RSRC2:TRAP_HANDLER: 0
; COMPUTE_PGM_RSRC2:TGID_X_EN: 1
; COMPUTE_PGM_RSRC2:TGID_Y_EN: 0
; COMPUTE_PGM_RSRC2:TGID_Z_EN: 0
; COMPUTE_PGM_RSRC2:TIDIG_COMP_CNT: 0
	.section	.text._Z17shuffle_up_kernelILj377ELj128EjEvPT1_S1_,"axG",@progbits,_Z17shuffle_up_kernelILj377ELj128EjEvPT1_S1_,comdat
	.protected	_Z17shuffle_up_kernelILj377ELj128EjEvPT1_S1_ ; -- Begin function _Z17shuffle_up_kernelILj377ELj128EjEvPT1_S1_
	.globl	_Z17shuffle_up_kernelILj377ELj128EjEvPT1_S1_
	.p2align	8
	.type	_Z17shuffle_up_kernelILj377ELj128EjEvPT1_S1_,@function
_Z17shuffle_up_kernelILj377ELj128EjEvPT1_S1_: ; @_Z17shuffle_up_kernelILj377ELj128EjEvPT1_S1_
; %bb.0:
	s_load_dwordx4 s[0:3], s[4:5], 0x0
	s_mulk_i32 s6, 0x179
	v_add_lshl_u32 v1, s6, v0, 7
	v_mov_b32_e32 v2, 0
	v_lshlrev_b64 v[1:2], 2, v[1:2]
	s_waitcnt lgkmcnt(0)
	v_mov_b32_e32 v4, s1
	v_add_co_u32_e32 v3, vcc, s0, v1
	v_addc_co_u32_e32 v4, vcc, v4, v2, vcc
	global_load_dwordx2 v[5:6], v[3:4], off offset:504
	v_mov_b32_e32 v7, s3
	v_add_co_u32_e32 v1, vcc, s2, v1
	v_addc_co_u32_e32 v2, vcc, v7, v2, vcc
	v_cmp_ne_u32_e32 vcc, 0, v0
	s_waitcnt vmcnt(0)
	global_store_dword v[1:2], v5, off offset:508
	global_load_dword v5, v[3:4], off offset:500
	s_waitcnt vmcnt(0)
	global_store_dword v[1:2], v5, off offset:504
	global_load_dword v5, v[3:4], off offset:496
	;; [unrolled: 3-line block ×125, first 2 shown]
	s_waitcnt vmcnt(0)
	global_store_dword v[1:2], v5, off offset:8
	global_load_dword v4, v[3:4], off
	v_lshlrev_b32_e32 v3, 2, v0
	ds_write_b32 v3, v6
	s_waitcnt vmcnt(0)
	global_store_dword v[1:2], v4, off offset:4
	s_waitcnt vmcnt(0) lgkmcnt(0)
	s_barrier
	s_and_saveexec_b64 s[0:1], vcc
	s_cbranch_execz .LBB40_2
; %bb.1:
	v_add_u32_e32 v0, -4, v3
	ds_read_b32 v0, v0
	s_waitcnt lgkmcnt(0)
	global_store_dword v[1:2], v0, off
.LBB40_2:
	s_endpgm
	.section	.rodata,"a",@progbits
	.p2align	6, 0x0
	.amdhsa_kernel _Z17shuffle_up_kernelILj377ELj128EjEvPT1_S1_
		.amdhsa_group_segment_fixed_size 1508
		.amdhsa_private_segment_fixed_size 0
		.amdhsa_kernarg_size 16
		.amdhsa_user_sgpr_count 6
		.amdhsa_user_sgpr_private_segment_buffer 1
		.amdhsa_user_sgpr_dispatch_ptr 0
		.amdhsa_user_sgpr_queue_ptr 0
		.amdhsa_user_sgpr_kernarg_segment_ptr 1
		.amdhsa_user_sgpr_dispatch_id 0
		.amdhsa_user_sgpr_flat_scratch_init 0
		.amdhsa_user_sgpr_private_segment_size 0
		.amdhsa_uses_dynamic_stack 0
		.amdhsa_system_sgpr_private_segment_wavefront_offset 0
		.amdhsa_system_sgpr_workgroup_id_x 1
		.amdhsa_system_sgpr_workgroup_id_y 0
		.amdhsa_system_sgpr_workgroup_id_z 0
		.amdhsa_system_sgpr_workgroup_info 0
		.amdhsa_system_vgpr_workitem_id 0
		.amdhsa_next_free_vgpr 8
		.amdhsa_next_free_sgpr 7
		.amdhsa_reserve_vcc 1
		.amdhsa_reserve_flat_scratch 0
		.amdhsa_float_round_mode_32 0
		.amdhsa_float_round_mode_16_64 0
		.amdhsa_float_denorm_mode_32 3
		.amdhsa_float_denorm_mode_16_64 3
		.amdhsa_dx10_clamp 1
		.amdhsa_ieee_mode 1
		.amdhsa_fp16_overflow 0
		.amdhsa_exception_fp_ieee_invalid_op 0
		.amdhsa_exception_fp_denorm_src 0
		.amdhsa_exception_fp_ieee_div_zero 0
		.amdhsa_exception_fp_ieee_overflow 0
		.amdhsa_exception_fp_ieee_underflow 0
		.amdhsa_exception_fp_ieee_inexact 0
		.amdhsa_exception_int_div_zero 0
	.end_amdhsa_kernel
	.section	.text._Z17shuffle_up_kernelILj377ELj128EjEvPT1_S1_,"axG",@progbits,_Z17shuffle_up_kernelILj377ELj128EjEvPT1_S1_,comdat
.Lfunc_end40:
	.size	_Z17shuffle_up_kernelILj377ELj128EjEvPT1_S1_, .Lfunc_end40-_Z17shuffle_up_kernelILj377ELj128EjEvPT1_S1_
                                        ; -- End function
	.set _Z17shuffle_up_kernelILj377ELj128EjEvPT1_S1_.num_vgpr, 8
	.set _Z17shuffle_up_kernelILj377ELj128EjEvPT1_S1_.num_agpr, 0
	.set _Z17shuffle_up_kernelILj377ELj128EjEvPT1_S1_.numbered_sgpr, 7
	.set _Z17shuffle_up_kernelILj377ELj128EjEvPT1_S1_.num_named_barrier, 0
	.set _Z17shuffle_up_kernelILj377ELj128EjEvPT1_S1_.private_seg_size, 0
	.set _Z17shuffle_up_kernelILj377ELj128EjEvPT1_S1_.uses_vcc, 1
	.set _Z17shuffle_up_kernelILj377ELj128EjEvPT1_S1_.uses_flat_scratch, 0
	.set _Z17shuffle_up_kernelILj377ELj128EjEvPT1_S1_.has_dyn_sized_stack, 0
	.set _Z17shuffle_up_kernelILj377ELj128EjEvPT1_S1_.has_recursion, 0
	.set _Z17shuffle_up_kernelILj377ELj128EjEvPT1_S1_.has_indirect_call, 0
	.section	.AMDGPU.csdata,"",@progbits
; Kernel info:
; codeLenInByte = 2660
; TotalNumSgprs: 11
; NumVgprs: 8
; ScratchSize: 0
; MemoryBound: 1
; FloatMode: 240
; IeeeMode: 1
; LDSByteSize: 1508 bytes/workgroup (compile time only)
; SGPRBlocks: 1
; VGPRBlocks: 1
; NumSGPRsForWavesPerEU: 11
; NumVGPRsForWavesPerEU: 8
; Occupancy: 10
; WaveLimiterHint : 1
; COMPUTE_PGM_RSRC2:SCRATCH_EN: 0
; COMPUTE_PGM_RSRC2:USER_SGPR: 6
; COMPUTE_PGM_RSRC2:TRAP_HANDLER: 0
; COMPUTE_PGM_RSRC2:TGID_X_EN: 1
; COMPUTE_PGM_RSRC2:TGID_Y_EN: 0
; COMPUTE_PGM_RSRC2:TGID_Z_EN: 0
; COMPUTE_PGM_RSRC2:TIDIG_COMP_CNT: 0
	.section	.text._Z17shuffle_up_kernelILj256ELj128EjEvPT1_S1_,"axG",@progbits,_Z17shuffle_up_kernelILj256ELj128EjEvPT1_S1_,comdat
	.protected	_Z17shuffle_up_kernelILj256ELj128EjEvPT1_S1_ ; -- Begin function _Z17shuffle_up_kernelILj256ELj128EjEvPT1_S1_
	.globl	_Z17shuffle_up_kernelILj256ELj128EjEvPT1_S1_
	.p2align	8
	.type	_Z17shuffle_up_kernelILj256ELj128EjEvPT1_S1_,@function
_Z17shuffle_up_kernelILj256ELj128EjEvPT1_S1_: ; @_Z17shuffle_up_kernelILj256ELj128EjEvPT1_S1_
; %bb.0:
	s_load_dwordx4 s[0:3], s[4:5], 0x0
	v_lshlrev_b32_e32 v1, 7, v0
	v_lshl_or_b32 v1, s6, 15, v1
	v_mov_b32_e32 v2, 0
	v_lshlrev_b64 v[1:2], 2, v[1:2]
	s_waitcnt lgkmcnt(0)
	v_mov_b32_e32 v4, s1
	v_add_co_u32_e32 v3, vcc, s0, v1
	v_addc_co_u32_e32 v4, vcc, v4, v2, vcc
	global_load_dwordx2 v[5:6], v[3:4], off offset:504
	v_mov_b32_e32 v7, s3
	v_add_co_u32_e32 v1, vcc, s2, v1
	v_addc_co_u32_e32 v2, vcc, v7, v2, vcc
	v_cmp_ne_u32_e32 vcc, 0, v0
	s_waitcnt vmcnt(0)
	global_store_dword v[1:2], v5, off offset:508
	global_load_dword v5, v[3:4], off offset:500
	s_waitcnt vmcnt(0)
	global_store_dword v[1:2], v5, off offset:504
	global_load_dword v5, v[3:4], off offset:496
	;; [unrolled: 3-line block ×125, first 2 shown]
	s_waitcnt vmcnt(0)
	global_store_dword v[1:2], v5, off offset:8
	global_load_dword v4, v[3:4], off
	v_lshlrev_b32_e32 v3, 2, v0
	ds_write_b32 v3, v6
	s_waitcnt vmcnt(0)
	global_store_dword v[1:2], v4, off offset:4
	s_waitcnt vmcnt(0) lgkmcnt(0)
	s_barrier
	s_and_saveexec_b64 s[0:1], vcc
	s_cbranch_execz .LBB41_2
; %bb.1:
	v_add_u32_e32 v0, -4, v3
	ds_read_b32 v0, v0
	s_waitcnt lgkmcnt(0)
	global_store_dword v[1:2], v0, off
.LBB41_2:
	s_endpgm
	.section	.rodata,"a",@progbits
	.p2align	6, 0x0
	.amdhsa_kernel _Z17shuffle_up_kernelILj256ELj128EjEvPT1_S1_
		.amdhsa_group_segment_fixed_size 1024
		.amdhsa_private_segment_fixed_size 0
		.amdhsa_kernarg_size 16
		.amdhsa_user_sgpr_count 6
		.amdhsa_user_sgpr_private_segment_buffer 1
		.amdhsa_user_sgpr_dispatch_ptr 0
		.amdhsa_user_sgpr_queue_ptr 0
		.amdhsa_user_sgpr_kernarg_segment_ptr 1
		.amdhsa_user_sgpr_dispatch_id 0
		.amdhsa_user_sgpr_flat_scratch_init 0
		.amdhsa_user_sgpr_private_segment_size 0
		.amdhsa_uses_dynamic_stack 0
		.amdhsa_system_sgpr_private_segment_wavefront_offset 0
		.amdhsa_system_sgpr_workgroup_id_x 1
		.amdhsa_system_sgpr_workgroup_id_y 0
		.amdhsa_system_sgpr_workgroup_id_z 0
		.amdhsa_system_sgpr_workgroup_info 0
		.amdhsa_system_vgpr_workitem_id 0
		.amdhsa_next_free_vgpr 8
		.amdhsa_next_free_sgpr 7
		.amdhsa_reserve_vcc 1
		.amdhsa_reserve_flat_scratch 0
		.amdhsa_float_round_mode_32 0
		.amdhsa_float_round_mode_16_64 0
		.amdhsa_float_denorm_mode_32 3
		.amdhsa_float_denorm_mode_16_64 3
		.amdhsa_dx10_clamp 1
		.amdhsa_ieee_mode 1
		.amdhsa_fp16_overflow 0
		.amdhsa_exception_fp_ieee_invalid_op 0
		.amdhsa_exception_fp_denorm_src 0
		.amdhsa_exception_fp_ieee_div_zero 0
		.amdhsa_exception_fp_ieee_overflow 0
		.amdhsa_exception_fp_ieee_underflow 0
		.amdhsa_exception_fp_ieee_inexact 0
		.amdhsa_exception_int_div_zero 0
	.end_amdhsa_kernel
	.section	.text._Z17shuffle_up_kernelILj256ELj128EjEvPT1_S1_,"axG",@progbits,_Z17shuffle_up_kernelILj256ELj128EjEvPT1_S1_,comdat
.Lfunc_end41:
	.size	_Z17shuffle_up_kernelILj256ELj128EjEvPT1_S1_, .Lfunc_end41-_Z17shuffle_up_kernelILj256ELj128EjEvPT1_S1_
                                        ; -- End function
	.set _Z17shuffle_up_kernelILj256ELj128EjEvPT1_S1_.num_vgpr, 8
	.set _Z17shuffle_up_kernelILj256ELj128EjEvPT1_S1_.num_agpr, 0
	.set _Z17shuffle_up_kernelILj256ELj128EjEvPT1_S1_.numbered_sgpr, 7
	.set _Z17shuffle_up_kernelILj256ELj128EjEvPT1_S1_.num_named_barrier, 0
	.set _Z17shuffle_up_kernelILj256ELj128EjEvPT1_S1_.private_seg_size, 0
	.set _Z17shuffle_up_kernelILj256ELj128EjEvPT1_S1_.uses_vcc, 1
	.set _Z17shuffle_up_kernelILj256ELj128EjEvPT1_S1_.uses_flat_scratch, 0
	.set _Z17shuffle_up_kernelILj256ELj128EjEvPT1_S1_.has_dyn_sized_stack, 0
	.set _Z17shuffle_up_kernelILj256ELj128EjEvPT1_S1_.has_recursion, 0
	.set _Z17shuffle_up_kernelILj256ELj128EjEvPT1_S1_.has_indirect_call, 0
	.section	.AMDGPU.csdata,"",@progbits
; Kernel info:
; codeLenInByte = 2660
; TotalNumSgprs: 11
; NumVgprs: 8
; ScratchSize: 0
; MemoryBound: 1
; FloatMode: 240
; IeeeMode: 1
; LDSByteSize: 1024 bytes/workgroup (compile time only)
; SGPRBlocks: 1
; VGPRBlocks: 1
; NumSGPRsForWavesPerEU: 11
; NumVGPRsForWavesPerEU: 8
; Occupancy: 10
; WaveLimiterHint : 1
; COMPUTE_PGM_RSRC2:SCRATCH_EN: 0
; COMPUTE_PGM_RSRC2:USER_SGPR: 6
; COMPUTE_PGM_RSRC2:TRAP_HANDLER: 0
; COMPUTE_PGM_RSRC2:TGID_X_EN: 1
; COMPUTE_PGM_RSRC2:TGID_Y_EN: 0
; COMPUTE_PGM_RSRC2:TGID_Z_EN: 0
; COMPUTE_PGM_RSRC2:TIDIG_COMP_CNT: 0
	.section	.text._Z17shuffle_up_kernelILj64ELj128EjEvPT1_S1_,"axG",@progbits,_Z17shuffle_up_kernelILj64ELj128EjEvPT1_S1_,comdat
	.protected	_Z17shuffle_up_kernelILj64ELj128EjEvPT1_S1_ ; -- Begin function _Z17shuffle_up_kernelILj64ELj128EjEvPT1_S1_
	.globl	_Z17shuffle_up_kernelILj64ELj128EjEvPT1_S1_
	.p2align	8
	.type	_Z17shuffle_up_kernelILj64ELj128EjEvPT1_S1_,@function
_Z17shuffle_up_kernelILj64ELj128EjEvPT1_S1_: ; @_Z17shuffle_up_kernelILj64ELj128EjEvPT1_S1_
; %bb.0:
	s_load_dwordx4 s[0:3], s[4:5], 0x0
	v_lshlrev_b32_e32 v1, 7, v0
	v_lshl_or_b32 v1, s6, 13, v1
	v_mov_b32_e32 v2, 0
	v_lshlrev_b64 v[1:2], 2, v[1:2]
	s_waitcnt lgkmcnt(0)
	v_mov_b32_e32 v4, s1
	v_add_co_u32_e32 v3, vcc, s0, v1
	v_addc_co_u32_e32 v4, vcc, v4, v2, vcc
	global_load_dwordx2 v[5:6], v[3:4], off offset:504
	v_mov_b32_e32 v7, s3
	v_add_co_u32_e32 v1, vcc, s2, v1
	v_addc_co_u32_e32 v2, vcc, v7, v2, vcc
	v_cmp_ne_u32_e32 vcc, 0, v0
	s_waitcnt vmcnt(0)
	global_store_dword v[1:2], v5, off offset:508
	global_load_dword v5, v[3:4], off offset:500
	s_waitcnt vmcnt(0)
	global_store_dword v[1:2], v5, off offset:504
	global_load_dword v5, v[3:4], off offset:496
	;; [unrolled: 3-line block ×125, first 2 shown]
	s_waitcnt vmcnt(0)
	global_store_dword v[1:2], v5, off offset:8
	global_load_dword v4, v[3:4], off
	v_lshlrev_b32_e32 v3, 2, v0
	ds_write_b32 v3, v6
	s_waitcnt vmcnt(0)
	global_store_dword v[1:2], v4, off offset:4
	s_waitcnt lgkmcnt(0)
	; wave barrier
	s_and_saveexec_b64 s[0:1], vcc
	s_cbranch_execz .LBB42_2
; %bb.1:
	v_add_u32_e32 v0, -4, v3
	ds_read_b32 v0, v0
	s_waitcnt lgkmcnt(0)
	global_store_dword v[1:2], v0, off
.LBB42_2:
	s_endpgm
	.section	.rodata,"a",@progbits
	.p2align	6, 0x0
	.amdhsa_kernel _Z17shuffle_up_kernelILj64ELj128EjEvPT1_S1_
		.amdhsa_group_segment_fixed_size 256
		.amdhsa_private_segment_fixed_size 0
		.amdhsa_kernarg_size 16
		.amdhsa_user_sgpr_count 6
		.amdhsa_user_sgpr_private_segment_buffer 1
		.amdhsa_user_sgpr_dispatch_ptr 0
		.amdhsa_user_sgpr_queue_ptr 0
		.amdhsa_user_sgpr_kernarg_segment_ptr 1
		.amdhsa_user_sgpr_dispatch_id 0
		.amdhsa_user_sgpr_flat_scratch_init 0
		.amdhsa_user_sgpr_private_segment_size 0
		.amdhsa_uses_dynamic_stack 0
		.amdhsa_system_sgpr_private_segment_wavefront_offset 0
		.amdhsa_system_sgpr_workgroup_id_x 1
		.amdhsa_system_sgpr_workgroup_id_y 0
		.amdhsa_system_sgpr_workgroup_id_z 0
		.amdhsa_system_sgpr_workgroup_info 0
		.amdhsa_system_vgpr_workitem_id 0
		.amdhsa_next_free_vgpr 8
		.amdhsa_next_free_sgpr 7
		.amdhsa_reserve_vcc 1
		.amdhsa_reserve_flat_scratch 0
		.amdhsa_float_round_mode_32 0
		.amdhsa_float_round_mode_16_64 0
		.amdhsa_float_denorm_mode_32 3
		.amdhsa_float_denorm_mode_16_64 3
		.amdhsa_dx10_clamp 1
		.amdhsa_ieee_mode 1
		.amdhsa_fp16_overflow 0
		.amdhsa_exception_fp_ieee_invalid_op 0
		.amdhsa_exception_fp_denorm_src 0
		.amdhsa_exception_fp_ieee_div_zero 0
		.amdhsa_exception_fp_ieee_overflow 0
		.amdhsa_exception_fp_ieee_underflow 0
		.amdhsa_exception_fp_ieee_inexact 0
		.amdhsa_exception_int_div_zero 0
	.end_amdhsa_kernel
	.section	.text._Z17shuffle_up_kernelILj64ELj128EjEvPT1_S1_,"axG",@progbits,_Z17shuffle_up_kernelILj64ELj128EjEvPT1_S1_,comdat
.Lfunc_end42:
	.size	_Z17shuffle_up_kernelILj64ELj128EjEvPT1_S1_, .Lfunc_end42-_Z17shuffle_up_kernelILj64ELj128EjEvPT1_S1_
                                        ; -- End function
	.set _Z17shuffle_up_kernelILj64ELj128EjEvPT1_S1_.num_vgpr, 8
	.set _Z17shuffle_up_kernelILj64ELj128EjEvPT1_S1_.num_agpr, 0
	.set _Z17shuffle_up_kernelILj64ELj128EjEvPT1_S1_.numbered_sgpr, 7
	.set _Z17shuffle_up_kernelILj64ELj128EjEvPT1_S1_.num_named_barrier, 0
	.set _Z17shuffle_up_kernelILj64ELj128EjEvPT1_S1_.private_seg_size, 0
	.set _Z17shuffle_up_kernelILj64ELj128EjEvPT1_S1_.uses_vcc, 1
	.set _Z17shuffle_up_kernelILj64ELj128EjEvPT1_S1_.uses_flat_scratch, 0
	.set _Z17shuffle_up_kernelILj64ELj128EjEvPT1_S1_.has_dyn_sized_stack, 0
	.set _Z17shuffle_up_kernelILj64ELj128EjEvPT1_S1_.has_recursion, 0
	.set _Z17shuffle_up_kernelILj64ELj128EjEvPT1_S1_.has_indirect_call, 0
	.section	.AMDGPU.csdata,"",@progbits
; Kernel info:
; codeLenInByte = 2656
; TotalNumSgprs: 11
; NumVgprs: 8
; ScratchSize: 0
; MemoryBound: 1
; FloatMode: 240
; IeeeMode: 1
; LDSByteSize: 256 bytes/workgroup (compile time only)
; SGPRBlocks: 1
; VGPRBlocks: 1
; NumSGPRsForWavesPerEU: 11
; NumVGPRsForWavesPerEU: 8
; Occupancy: 10
; WaveLimiterHint : 1
; COMPUTE_PGM_RSRC2:SCRATCH_EN: 0
; COMPUTE_PGM_RSRC2:USER_SGPR: 6
; COMPUTE_PGM_RSRC2:TRAP_HANDLER: 0
; COMPUTE_PGM_RSRC2:TGID_X_EN: 1
; COMPUTE_PGM_RSRC2:TGID_Y_EN: 0
; COMPUTE_PGM_RSRC2:TGID_Z_EN: 0
; COMPUTE_PGM_RSRC2:TIDIG_COMP_CNT: 0
	.section	.text._Z17shuffle_up_kernelILj255ELj128EiEvPT1_S1_,"axG",@progbits,_Z17shuffle_up_kernelILj255ELj128EiEvPT1_S1_,comdat
	.protected	_Z17shuffle_up_kernelILj255ELj128EiEvPT1_S1_ ; -- Begin function _Z17shuffle_up_kernelILj255ELj128EiEvPT1_S1_
	.globl	_Z17shuffle_up_kernelILj255ELj128EiEvPT1_S1_
	.p2align	8
	.type	_Z17shuffle_up_kernelILj255ELj128EiEvPT1_S1_,@function
_Z17shuffle_up_kernelILj255ELj128EiEvPT1_S1_: ; @_Z17shuffle_up_kernelILj255ELj128EiEvPT1_S1_
; %bb.0:
	s_load_dwordx4 s[0:3], s[4:5], 0x0
	s_mulk_i32 s6, 0xff
	v_add_lshl_u32 v1, s6, v0, 7
	v_mov_b32_e32 v2, 0
	v_lshlrev_b64 v[1:2], 2, v[1:2]
	s_waitcnt lgkmcnt(0)
	v_mov_b32_e32 v4, s1
	v_add_co_u32_e32 v3, vcc, s0, v1
	v_addc_co_u32_e32 v4, vcc, v4, v2, vcc
	global_load_dwordx2 v[5:6], v[3:4], off offset:504
	v_mov_b32_e32 v7, s3
	v_add_co_u32_e32 v1, vcc, s2, v1
	v_addc_co_u32_e32 v2, vcc, v7, v2, vcc
	v_cmp_ne_u32_e32 vcc, 0, v0
	s_waitcnt vmcnt(0)
	global_store_dword v[1:2], v5, off offset:508
	global_load_dword v5, v[3:4], off offset:500
	s_waitcnt vmcnt(0)
	global_store_dword v[1:2], v5, off offset:504
	global_load_dword v5, v[3:4], off offset:496
	;; [unrolled: 3-line block ×125, first 2 shown]
	s_waitcnt vmcnt(0)
	global_store_dword v[1:2], v5, off offset:8
	global_load_dword v4, v[3:4], off
	v_lshlrev_b32_e32 v3, 2, v0
	ds_write_b32 v3, v6
	s_waitcnt vmcnt(0)
	global_store_dword v[1:2], v4, off offset:4
	s_waitcnt vmcnt(0) lgkmcnt(0)
	s_barrier
	s_and_saveexec_b64 s[0:1], vcc
	s_cbranch_execz .LBB43_2
; %bb.1:
	v_add_u32_e32 v0, -4, v3
	ds_read_b32 v0, v0
	s_waitcnt lgkmcnt(0)
	global_store_dword v[1:2], v0, off
.LBB43_2:
	s_endpgm
	.section	.rodata,"a",@progbits
	.p2align	6, 0x0
	.amdhsa_kernel _Z17shuffle_up_kernelILj255ELj128EiEvPT1_S1_
		.amdhsa_group_segment_fixed_size 1020
		.amdhsa_private_segment_fixed_size 0
		.amdhsa_kernarg_size 16
		.amdhsa_user_sgpr_count 6
		.amdhsa_user_sgpr_private_segment_buffer 1
		.amdhsa_user_sgpr_dispatch_ptr 0
		.amdhsa_user_sgpr_queue_ptr 0
		.amdhsa_user_sgpr_kernarg_segment_ptr 1
		.amdhsa_user_sgpr_dispatch_id 0
		.amdhsa_user_sgpr_flat_scratch_init 0
		.amdhsa_user_sgpr_private_segment_size 0
		.amdhsa_uses_dynamic_stack 0
		.amdhsa_system_sgpr_private_segment_wavefront_offset 0
		.amdhsa_system_sgpr_workgroup_id_x 1
		.amdhsa_system_sgpr_workgroup_id_y 0
		.amdhsa_system_sgpr_workgroup_id_z 0
		.amdhsa_system_sgpr_workgroup_info 0
		.amdhsa_system_vgpr_workitem_id 0
		.amdhsa_next_free_vgpr 8
		.amdhsa_next_free_sgpr 7
		.amdhsa_reserve_vcc 1
		.amdhsa_reserve_flat_scratch 0
		.amdhsa_float_round_mode_32 0
		.amdhsa_float_round_mode_16_64 0
		.amdhsa_float_denorm_mode_32 3
		.amdhsa_float_denorm_mode_16_64 3
		.amdhsa_dx10_clamp 1
		.amdhsa_ieee_mode 1
		.amdhsa_fp16_overflow 0
		.amdhsa_exception_fp_ieee_invalid_op 0
		.amdhsa_exception_fp_denorm_src 0
		.amdhsa_exception_fp_ieee_div_zero 0
		.amdhsa_exception_fp_ieee_overflow 0
		.amdhsa_exception_fp_ieee_underflow 0
		.amdhsa_exception_fp_ieee_inexact 0
		.amdhsa_exception_int_div_zero 0
	.end_amdhsa_kernel
	.section	.text._Z17shuffle_up_kernelILj255ELj128EiEvPT1_S1_,"axG",@progbits,_Z17shuffle_up_kernelILj255ELj128EiEvPT1_S1_,comdat
.Lfunc_end43:
	.size	_Z17shuffle_up_kernelILj255ELj128EiEvPT1_S1_, .Lfunc_end43-_Z17shuffle_up_kernelILj255ELj128EiEvPT1_S1_
                                        ; -- End function
	.set _Z17shuffle_up_kernelILj255ELj128EiEvPT1_S1_.num_vgpr, 8
	.set _Z17shuffle_up_kernelILj255ELj128EiEvPT1_S1_.num_agpr, 0
	.set _Z17shuffle_up_kernelILj255ELj128EiEvPT1_S1_.numbered_sgpr, 7
	.set _Z17shuffle_up_kernelILj255ELj128EiEvPT1_S1_.num_named_barrier, 0
	.set _Z17shuffle_up_kernelILj255ELj128EiEvPT1_S1_.private_seg_size, 0
	.set _Z17shuffle_up_kernelILj255ELj128EiEvPT1_S1_.uses_vcc, 1
	.set _Z17shuffle_up_kernelILj255ELj128EiEvPT1_S1_.uses_flat_scratch, 0
	.set _Z17shuffle_up_kernelILj255ELj128EiEvPT1_S1_.has_dyn_sized_stack, 0
	.set _Z17shuffle_up_kernelILj255ELj128EiEvPT1_S1_.has_recursion, 0
	.set _Z17shuffle_up_kernelILj255ELj128EiEvPT1_S1_.has_indirect_call, 0
	.section	.AMDGPU.csdata,"",@progbits
; Kernel info:
; codeLenInByte = 2660
; TotalNumSgprs: 11
; NumVgprs: 8
; ScratchSize: 0
; MemoryBound: 1
; FloatMode: 240
; IeeeMode: 1
; LDSByteSize: 1020 bytes/workgroup (compile time only)
; SGPRBlocks: 1
; VGPRBlocks: 1
; NumSGPRsForWavesPerEU: 11
; NumVGPRsForWavesPerEU: 8
; Occupancy: 10
; WaveLimiterHint : 1
; COMPUTE_PGM_RSRC2:SCRATCH_EN: 0
; COMPUTE_PGM_RSRC2:USER_SGPR: 6
; COMPUTE_PGM_RSRC2:TRAP_HANDLER: 0
; COMPUTE_PGM_RSRC2:TGID_X_EN: 1
; COMPUTE_PGM_RSRC2:TGID_Y_EN: 0
; COMPUTE_PGM_RSRC2:TGID_Z_EN: 0
; COMPUTE_PGM_RSRC2:TIDIG_COMP_CNT: 0
	.section	.text._Z17shuffle_up_kernelILj162ELj128EiEvPT1_S1_,"axG",@progbits,_Z17shuffle_up_kernelILj162ELj128EiEvPT1_S1_,comdat
	.protected	_Z17shuffle_up_kernelILj162ELj128EiEvPT1_S1_ ; -- Begin function _Z17shuffle_up_kernelILj162ELj128EiEvPT1_S1_
	.globl	_Z17shuffle_up_kernelILj162ELj128EiEvPT1_S1_
	.p2align	8
	.type	_Z17shuffle_up_kernelILj162ELj128EiEvPT1_S1_,@function
_Z17shuffle_up_kernelILj162ELj128EiEvPT1_S1_: ; @_Z17shuffle_up_kernelILj162ELj128EiEvPT1_S1_
; %bb.0:
	s_load_dwordx4 s[0:3], s[4:5], 0x0
	s_mulk_i32 s6, 0xa2
	v_add_lshl_u32 v1, s6, v0, 7
	v_mov_b32_e32 v2, 0
	v_lshlrev_b64 v[1:2], 2, v[1:2]
	s_waitcnt lgkmcnt(0)
	v_mov_b32_e32 v4, s1
	v_add_co_u32_e32 v3, vcc, s0, v1
	v_addc_co_u32_e32 v4, vcc, v4, v2, vcc
	global_load_dwordx2 v[5:6], v[3:4], off offset:504
	v_mov_b32_e32 v7, s3
	v_add_co_u32_e32 v1, vcc, s2, v1
	v_addc_co_u32_e32 v2, vcc, v7, v2, vcc
	v_cmp_ne_u32_e32 vcc, 0, v0
	s_waitcnt vmcnt(0)
	global_store_dword v[1:2], v5, off offset:508
	global_load_dword v5, v[3:4], off offset:500
	s_waitcnt vmcnt(0)
	global_store_dword v[1:2], v5, off offset:504
	global_load_dword v5, v[3:4], off offset:496
	;; [unrolled: 3-line block ×125, first 2 shown]
	s_waitcnt vmcnt(0)
	global_store_dword v[1:2], v5, off offset:8
	global_load_dword v4, v[3:4], off
	v_lshlrev_b32_e32 v3, 2, v0
	ds_write_b32 v3, v6
	s_waitcnt vmcnt(0)
	global_store_dword v[1:2], v4, off offset:4
	s_waitcnt vmcnt(0) lgkmcnt(0)
	s_barrier
	s_and_saveexec_b64 s[0:1], vcc
	s_cbranch_execz .LBB44_2
; %bb.1:
	v_add_u32_e32 v0, -4, v3
	ds_read_b32 v0, v0
	s_waitcnt lgkmcnt(0)
	global_store_dword v[1:2], v0, off
.LBB44_2:
	s_endpgm
	.section	.rodata,"a",@progbits
	.p2align	6, 0x0
	.amdhsa_kernel _Z17shuffle_up_kernelILj162ELj128EiEvPT1_S1_
		.amdhsa_group_segment_fixed_size 648
		.amdhsa_private_segment_fixed_size 0
		.amdhsa_kernarg_size 16
		.amdhsa_user_sgpr_count 6
		.amdhsa_user_sgpr_private_segment_buffer 1
		.amdhsa_user_sgpr_dispatch_ptr 0
		.amdhsa_user_sgpr_queue_ptr 0
		.amdhsa_user_sgpr_kernarg_segment_ptr 1
		.amdhsa_user_sgpr_dispatch_id 0
		.amdhsa_user_sgpr_flat_scratch_init 0
		.amdhsa_user_sgpr_private_segment_size 0
		.amdhsa_uses_dynamic_stack 0
		.amdhsa_system_sgpr_private_segment_wavefront_offset 0
		.amdhsa_system_sgpr_workgroup_id_x 1
		.amdhsa_system_sgpr_workgroup_id_y 0
		.amdhsa_system_sgpr_workgroup_id_z 0
		.amdhsa_system_sgpr_workgroup_info 0
		.amdhsa_system_vgpr_workitem_id 0
		.amdhsa_next_free_vgpr 8
		.amdhsa_next_free_sgpr 7
		.amdhsa_reserve_vcc 1
		.amdhsa_reserve_flat_scratch 0
		.amdhsa_float_round_mode_32 0
		.amdhsa_float_round_mode_16_64 0
		.amdhsa_float_denorm_mode_32 3
		.amdhsa_float_denorm_mode_16_64 3
		.amdhsa_dx10_clamp 1
		.amdhsa_ieee_mode 1
		.amdhsa_fp16_overflow 0
		.amdhsa_exception_fp_ieee_invalid_op 0
		.amdhsa_exception_fp_denorm_src 0
		.amdhsa_exception_fp_ieee_div_zero 0
		.amdhsa_exception_fp_ieee_overflow 0
		.amdhsa_exception_fp_ieee_underflow 0
		.amdhsa_exception_fp_ieee_inexact 0
		.amdhsa_exception_int_div_zero 0
	.end_amdhsa_kernel
	.section	.text._Z17shuffle_up_kernelILj162ELj128EiEvPT1_S1_,"axG",@progbits,_Z17shuffle_up_kernelILj162ELj128EiEvPT1_S1_,comdat
.Lfunc_end44:
	.size	_Z17shuffle_up_kernelILj162ELj128EiEvPT1_S1_, .Lfunc_end44-_Z17shuffle_up_kernelILj162ELj128EiEvPT1_S1_
                                        ; -- End function
	.set _Z17shuffle_up_kernelILj162ELj128EiEvPT1_S1_.num_vgpr, 8
	.set _Z17shuffle_up_kernelILj162ELj128EiEvPT1_S1_.num_agpr, 0
	.set _Z17shuffle_up_kernelILj162ELj128EiEvPT1_S1_.numbered_sgpr, 7
	.set _Z17shuffle_up_kernelILj162ELj128EiEvPT1_S1_.num_named_barrier, 0
	.set _Z17shuffle_up_kernelILj162ELj128EiEvPT1_S1_.private_seg_size, 0
	.set _Z17shuffle_up_kernelILj162ELj128EiEvPT1_S1_.uses_vcc, 1
	.set _Z17shuffle_up_kernelILj162ELj128EiEvPT1_S1_.uses_flat_scratch, 0
	.set _Z17shuffle_up_kernelILj162ELj128EiEvPT1_S1_.has_dyn_sized_stack, 0
	.set _Z17shuffle_up_kernelILj162ELj128EiEvPT1_S1_.has_recursion, 0
	.set _Z17shuffle_up_kernelILj162ELj128EiEvPT1_S1_.has_indirect_call, 0
	.section	.AMDGPU.csdata,"",@progbits
; Kernel info:
; codeLenInByte = 2660
; TotalNumSgprs: 11
; NumVgprs: 8
; ScratchSize: 0
; MemoryBound: 1
; FloatMode: 240
; IeeeMode: 1
; LDSByteSize: 648 bytes/workgroup (compile time only)
; SGPRBlocks: 1
; VGPRBlocks: 1
; NumSGPRsForWavesPerEU: 11
; NumVGPRsForWavesPerEU: 8
; Occupancy: 10
; WaveLimiterHint : 1
; COMPUTE_PGM_RSRC2:SCRATCH_EN: 0
; COMPUTE_PGM_RSRC2:USER_SGPR: 6
; COMPUTE_PGM_RSRC2:TRAP_HANDLER: 0
; COMPUTE_PGM_RSRC2:TGID_X_EN: 1
; COMPUTE_PGM_RSRC2:TGID_Y_EN: 0
; COMPUTE_PGM_RSRC2:TGID_Z_EN: 0
; COMPUTE_PGM_RSRC2:TIDIG_COMP_CNT: 0
	.section	.text._Z17shuffle_up_kernelILj37ELj128EiEvPT1_S1_,"axG",@progbits,_Z17shuffle_up_kernelILj37ELj128EiEvPT1_S1_,comdat
	.protected	_Z17shuffle_up_kernelILj37ELj128EiEvPT1_S1_ ; -- Begin function _Z17shuffle_up_kernelILj37ELj128EiEvPT1_S1_
	.globl	_Z17shuffle_up_kernelILj37ELj128EiEvPT1_S1_
	.p2align	8
	.type	_Z17shuffle_up_kernelILj37ELj128EiEvPT1_S1_,@function
_Z17shuffle_up_kernelILj37ELj128EiEvPT1_S1_: ; @_Z17shuffle_up_kernelILj37ELj128EiEvPT1_S1_
; %bb.0:
	s_load_dwordx4 s[0:3], s[4:5], 0x0
	s_mul_i32 s6, s6, 37
	v_add_lshl_u32 v1, s6, v0, 7
	v_mov_b32_e32 v2, 0
	v_lshlrev_b64 v[1:2], 2, v[1:2]
	s_waitcnt lgkmcnt(0)
	v_mov_b32_e32 v4, s1
	v_add_co_u32_e32 v3, vcc, s0, v1
	v_addc_co_u32_e32 v4, vcc, v4, v2, vcc
	global_load_dwordx2 v[5:6], v[3:4], off offset:504
	v_mov_b32_e32 v7, s3
	v_add_co_u32_e32 v1, vcc, s2, v1
	v_addc_co_u32_e32 v2, vcc, v7, v2, vcc
	v_cmp_ne_u32_e32 vcc, 0, v0
	s_waitcnt vmcnt(0)
	global_store_dword v[1:2], v5, off offset:508
	global_load_dword v5, v[3:4], off offset:500
	s_waitcnt vmcnt(0)
	global_store_dword v[1:2], v5, off offset:504
	global_load_dword v5, v[3:4], off offset:496
	;; [unrolled: 3-line block ×125, first 2 shown]
	s_waitcnt vmcnt(0)
	global_store_dword v[1:2], v5, off offset:8
	global_load_dword v4, v[3:4], off
	v_lshlrev_b32_e32 v3, 2, v0
	ds_write_b32 v3, v6
	s_waitcnt vmcnt(0)
	global_store_dword v[1:2], v4, off offset:4
	s_waitcnt lgkmcnt(0)
	; wave barrier
	s_and_saveexec_b64 s[0:1], vcc
	s_cbranch_execz .LBB45_2
; %bb.1:
	v_add_u32_e32 v0, -4, v3
	ds_read_b32 v0, v0
	s_waitcnt lgkmcnt(0)
	global_store_dword v[1:2], v0, off
.LBB45_2:
	s_endpgm
	.section	.rodata,"a",@progbits
	.p2align	6, 0x0
	.amdhsa_kernel _Z17shuffle_up_kernelILj37ELj128EiEvPT1_S1_
		.amdhsa_group_segment_fixed_size 148
		.amdhsa_private_segment_fixed_size 0
		.amdhsa_kernarg_size 16
		.amdhsa_user_sgpr_count 6
		.amdhsa_user_sgpr_private_segment_buffer 1
		.amdhsa_user_sgpr_dispatch_ptr 0
		.amdhsa_user_sgpr_queue_ptr 0
		.amdhsa_user_sgpr_kernarg_segment_ptr 1
		.amdhsa_user_sgpr_dispatch_id 0
		.amdhsa_user_sgpr_flat_scratch_init 0
		.amdhsa_user_sgpr_private_segment_size 0
		.amdhsa_uses_dynamic_stack 0
		.amdhsa_system_sgpr_private_segment_wavefront_offset 0
		.amdhsa_system_sgpr_workgroup_id_x 1
		.amdhsa_system_sgpr_workgroup_id_y 0
		.amdhsa_system_sgpr_workgroup_id_z 0
		.amdhsa_system_sgpr_workgroup_info 0
		.amdhsa_system_vgpr_workitem_id 0
		.amdhsa_next_free_vgpr 8
		.amdhsa_next_free_sgpr 7
		.amdhsa_reserve_vcc 1
		.amdhsa_reserve_flat_scratch 0
		.amdhsa_float_round_mode_32 0
		.amdhsa_float_round_mode_16_64 0
		.amdhsa_float_denorm_mode_32 3
		.amdhsa_float_denorm_mode_16_64 3
		.amdhsa_dx10_clamp 1
		.amdhsa_ieee_mode 1
		.amdhsa_fp16_overflow 0
		.amdhsa_exception_fp_ieee_invalid_op 0
		.amdhsa_exception_fp_denorm_src 0
		.amdhsa_exception_fp_ieee_div_zero 0
		.amdhsa_exception_fp_ieee_overflow 0
		.amdhsa_exception_fp_ieee_underflow 0
		.amdhsa_exception_fp_ieee_inexact 0
		.amdhsa_exception_int_div_zero 0
	.end_amdhsa_kernel
	.section	.text._Z17shuffle_up_kernelILj37ELj128EiEvPT1_S1_,"axG",@progbits,_Z17shuffle_up_kernelILj37ELj128EiEvPT1_S1_,comdat
.Lfunc_end45:
	.size	_Z17shuffle_up_kernelILj37ELj128EiEvPT1_S1_, .Lfunc_end45-_Z17shuffle_up_kernelILj37ELj128EiEvPT1_S1_
                                        ; -- End function
	.set _Z17shuffle_up_kernelILj37ELj128EiEvPT1_S1_.num_vgpr, 8
	.set _Z17shuffle_up_kernelILj37ELj128EiEvPT1_S1_.num_agpr, 0
	.set _Z17shuffle_up_kernelILj37ELj128EiEvPT1_S1_.numbered_sgpr, 7
	.set _Z17shuffle_up_kernelILj37ELj128EiEvPT1_S1_.num_named_barrier, 0
	.set _Z17shuffle_up_kernelILj37ELj128EiEvPT1_S1_.private_seg_size, 0
	.set _Z17shuffle_up_kernelILj37ELj128EiEvPT1_S1_.uses_vcc, 1
	.set _Z17shuffle_up_kernelILj37ELj128EiEvPT1_S1_.uses_flat_scratch, 0
	.set _Z17shuffle_up_kernelILj37ELj128EiEvPT1_S1_.has_dyn_sized_stack, 0
	.set _Z17shuffle_up_kernelILj37ELj128EiEvPT1_S1_.has_recursion, 0
	.set _Z17shuffle_up_kernelILj37ELj128EiEvPT1_S1_.has_indirect_call, 0
	.section	.AMDGPU.csdata,"",@progbits
; Kernel info:
; codeLenInByte = 2656
; TotalNumSgprs: 11
; NumVgprs: 8
; ScratchSize: 0
; MemoryBound: 1
; FloatMode: 240
; IeeeMode: 1
; LDSByteSize: 148 bytes/workgroup (compile time only)
; SGPRBlocks: 1
; VGPRBlocks: 1
; NumSGPRsForWavesPerEU: 11
; NumVGPRsForWavesPerEU: 8
; Occupancy: 10
; WaveLimiterHint : 1
; COMPUTE_PGM_RSRC2:SCRATCH_EN: 0
; COMPUTE_PGM_RSRC2:USER_SGPR: 6
; COMPUTE_PGM_RSRC2:TRAP_HANDLER: 0
; COMPUTE_PGM_RSRC2:TGID_X_EN: 1
; COMPUTE_PGM_RSRC2:TGID_Y_EN: 0
; COMPUTE_PGM_RSRC2:TGID_Z_EN: 0
; COMPUTE_PGM_RSRC2:TIDIG_COMP_CNT: 0
	.section	.text._Z17shuffle_up_kernelILj65ELj128EiEvPT1_S1_,"axG",@progbits,_Z17shuffle_up_kernelILj65ELj128EiEvPT1_S1_,comdat
	.protected	_Z17shuffle_up_kernelILj65ELj128EiEvPT1_S1_ ; -- Begin function _Z17shuffle_up_kernelILj65ELj128EiEvPT1_S1_
	.globl	_Z17shuffle_up_kernelILj65ELj128EiEvPT1_S1_
	.p2align	8
	.type	_Z17shuffle_up_kernelILj65ELj128EiEvPT1_S1_,@function
_Z17shuffle_up_kernelILj65ELj128EiEvPT1_S1_: ; @_Z17shuffle_up_kernelILj65ELj128EiEvPT1_S1_
; %bb.0:
	s_load_dwordx4 s[0:3], s[4:5], 0x0
	s_mulk_i32 s6, 0x41
	v_add_lshl_u32 v1, s6, v0, 7
	v_mov_b32_e32 v2, 0
	v_lshlrev_b64 v[1:2], 2, v[1:2]
	s_waitcnt lgkmcnt(0)
	v_mov_b32_e32 v4, s1
	v_add_co_u32_e32 v3, vcc, s0, v1
	v_addc_co_u32_e32 v4, vcc, v4, v2, vcc
	global_load_dwordx2 v[5:6], v[3:4], off offset:504
	v_mov_b32_e32 v7, s3
	v_add_co_u32_e32 v1, vcc, s2, v1
	v_addc_co_u32_e32 v2, vcc, v7, v2, vcc
	v_cmp_ne_u32_e32 vcc, 0, v0
	s_waitcnt vmcnt(0)
	global_store_dword v[1:2], v5, off offset:508
	global_load_dword v5, v[3:4], off offset:500
	s_waitcnt vmcnt(0)
	global_store_dword v[1:2], v5, off offset:504
	global_load_dword v5, v[3:4], off offset:496
	s_waitcnt vmcnt(0)
	global_store_dword v[1:2], v5, off offset:500
	global_load_dword v5, v[3:4], off offset:492
	s_waitcnt vmcnt(0)
	global_store_dword v[1:2], v5, off offset:496
	global_load_dword v5, v[3:4], off offset:488
	s_waitcnt vmcnt(0)
	global_store_dword v[1:2], v5, off offset:492
	global_load_dword v5, v[3:4], off offset:484
	s_waitcnt vmcnt(0)
	global_store_dword v[1:2], v5, off offset:488
	global_load_dword v5, v[3:4], off offset:480
	s_waitcnt vmcnt(0)
	global_store_dword v[1:2], v5, off offset:484
	global_load_dword v5, v[3:4], off offset:476
	s_waitcnt vmcnt(0)
	global_store_dword v[1:2], v5, off offset:480
	global_load_dword v5, v[3:4], off offset:472
	s_waitcnt vmcnt(0)
	global_store_dword v[1:2], v5, off offset:476
	global_load_dword v5, v[3:4], off offset:468
	s_waitcnt vmcnt(0)
	global_store_dword v[1:2], v5, off offset:472
	global_load_dword v5, v[3:4], off offset:464
	s_waitcnt vmcnt(0)
	global_store_dword v[1:2], v5, off offset:468
	global_load_dword v5, v[3:4], off offset:460
	s_waitcnt vmcnt(0)
	global_store_dword v[1:2], v5, off offset:464
	global_load_dword v5, v[3:4], off offset:456
	s_waitcnt vmcnt(0)
	global_store_dword v[1:2], v5, off offset:460
	global_load_dword v5, v[3:4], off offset:452
	s_waitcnt vmcnt(0)
	global_store_dword v[1:2], v5, off offset:456
	global_load_dword v5, v[3:4], off offset:448
	s_waitcnt vmcnt(0)
	global_store_dword v[1:2], v5, off offset:452
	global_load_dword v5, v[3:4], off offset:444
	s_waitcnt vmcnt(0)
	global_store_dword v[1:2], v5, off offset:448
	global_load_dword v5, v[3:4], off offset:440
	s_waitcnt vmcnt(0)
	global_store_dword v[1:2], v5, off offset:444
	global_load_dword v5, v[3:4], off offset:436
	s_waitcnt vmcnt(0)
	global_store_dword v[1:2], v5, off offset:440
	global_load_dword v5, v[3:4], off offset:432
	s_waitcnt vmcnt(0)
	global_store_dword v[1:2], v5, off offset:436
	global_load_dword v5, v[3:4], off offset:428
	s_waitcnt vmcnt(0)
	global_store_dword v[1:2], v5, off offset:432
	global_load_dword v5, v[3:4], off offset:424
	s_waitcnt vmcnt(0)
	global_store_dword v[1:2], v5, off offset:428
	global_load_dword v5, v[3:4], off offset:420
	s_waitcnt vmcnt(0)
	global_store_dword v[1:2], v5, off offset:424
	global_load_dword v5, v[3:4], off offset:416
	s_waitcnt vmcnt(0)
	global_store_dword v[1:2], v5, off offset:420
	global_load_dword v5, v[3:4], off offset:412
	s_waitcnt vmcnt(0)
	global_store_dword v[1:2], v5, off offset:416
	global_load_dword v5, v[3:4], off offset:408
	s_waitcnt vmcnt(0)
	global_store_dword v[1:2], v5, off offset:412
	global_load_dword v5, v[3:4], off offset:404
	s_waitcnt vmcnt(0)
	global_store_dword v[1:2], v5, off offset:408
	global_load_dword v5, v[3:4], off offset:400
	s_waitcnt vmcnt(0)
	global_store_dword v[1:2], v5, off offset:404
	global_load_dword v5, v[3:4], off offset:396
	s_waitcnt vmcnt(0)
	global_store_dword v[1:2], v5, off offset:400
	global_load_dword v5, v[3:4], off offset:392
	s_waitcnt vmcnt(0)
	global_store_dword v[1:2], v5, off offset:396
	global_load_dword v5, v[3:4], off offset:388
	s_waitcnt vmcnt(0)
	global_store_dword v[1:2], v5, off offset:392
	global_load_dword v5, v[3:4], off offset:384
	s_waitcnt vmcnt(0)
	global_store_dword v[1:2], v5, off offset:388
	global_load_dword v5, v[3:4], off offset:380
	s_waitcnt vmcnt(0)
	global_store_dword v[1:2], v5, off offset:384
	global_load_dword v5, v[3:4], off offset:376
	s_waitcnt vmcnt(0)
	global_store_dword v[1:2], v5, off offset:380
	global_load_dword v5, v[3:4], off offset:372
	s_waitcnt vmcnt(0)
	global_store_dword v[1:2], v5, off offset:376
	global_load_dword v5, v[3:4], off offset:368
	s_waitcnt vmcnt(0)
	global_store_dword v[1:2], v5, off offset:372
	global_load_dword v5, v[3:4], off offset:364
	s_waitcnt vmcnt(0)
	global_store_dword v[1:2], v5, off offset:368
	global_load_dword v5, v[3:4], off offset:360
	s_waitcnt vmcnt(0)
	global_store_dword v[1:2], v5, off offset:364
	global_load_dword v5, v[3:4], off offset:356
	s_waitcnt vmcnt(0)
	global_store_dword v[1:2], v5, off offset:360
	global_load_dword v5, v[3:4], off offset:352
	s_waitcnt vmcnt(0)
	global_store_dword v[1:2], v5, off offset:356
	global_load_dword v5, v[3:4], off offset:348
	s_waitcnt vmcnt(0)
	global_store_dword v[1:2], v5, off offset:352
	global_load_dword v5, v[3:4], off offset:344
	s_waitcnt vmcnt(0)
	global_store_dword v[1:2], v5, off offset:348
	global_load_dword v5, v[3:4], off offset:340
	s_waitcnt vmcnt(0)
	global_store_dword v[1:2], v5, off offset:344
	global_load_dword v5, v[3:4], off offset:336
	s_waitcnt vmcnt(0)
	global_store_dword v[1:2], v5, off offset:340
	global_load_dword v5, v[3:4], off offset:332
	s_waitcnt vmcnt(0)
	global_store_dword v[1:2], v5, off offset:336
	global_load_dword v5, v[3:4], off offset:328
	s_waitcnt vmcnt(0)
	global_store_dword v[1:2], v5, off offset:332
	global_load_dword v5, v[3:4], off offset:324
	s_waitcnt vmcnt(0)
	global_store_dword v[1:2], v5, off offset:328
	global_load_dword v5, v[3:4], off offset:320
	s_waitcnt vmcnt(0)
	global_store_dword v[1:2], v5, off offset:324
	global_load_dword v5, v[3:4], off offset:316
	s_waitcnt vmcnt(0)
	global_store_dword v[1:2], v5, off offset:320
	global_load_dword v5, v[3:4], off offset:312
	s_waitcnt vmcnt(0)
	global_store_dword v[1:2], v5, off offset:316
	global_load_dword v5, v[3:4], off offset:308
	s_waitcnt vmcnt(0)
	global_store_dword v[1:2], v5, off offset:312
	global_load_dword v5, v[3:4], off offset:304
	s_waitcnt vmcnt(0)
	global_store_dword v[1:2], v5, off offset:308
	global_load_dword v5, v[3:4], off offset:300
	s_waitcnt vmcnt(0)
	global_store_dword v[1:2], v5, off offset:304
	global_load_dword v5, v[3:4], off offset:296
	s_waitcnt vmcnt(0)
	global_store_dword v[1:2], v5, off offset:300
	global_load_dword v5, v[3:4], off offset:292
	s_waitcnt vmcnt(0)
	global_store_dword v[1:2], v5, off offset:296
	global_load_dword v5, v[3:4], off offset:288
	s_waitcnt vmcnt(0)
	global_store_dword v[1:2], v5, off offset:292
	global_load_dword v5, v[3:4], off offset:284
	s_waitcnt vmcnt(0)
	global_store_dword v[1:2], v5, off offset:288
	global_load_dword v5, v[3:4], off offset:280
	s_waitcnt vmcnt(0)
	global_store_dword v[1:2], v5, off offset:284
	global_load_dword v5, v[3:4], off offset:276
	s_waitcnt vmcnt(0)
	global_store_dword v[1:2], v5, off offset:280
	global_load_dword v5, v[3:4], off offset:272
	s_waitcnt vmcnt(0)
	global_store_dword v[1:2], v5, off offset:276
	global_load_dword v5, v[3:4], off offset:268
	s_waitcnt vmcnt(0)
	global_store_dword v[1:2], v5, off offset:272
	global_load_dword v5, v[3:4], off offset:264
	s_waitcnt vmcnt(0)
	global_store_dword v[1:2], v5, off offset:268
	global_load_dword v5, v[3:4], off offset:260
	s_waitcnt vmcnt(0)
	global_store_dword v[1:2], v5, off offset:264
	global_load_dword v5, v[3:4], off offset:256
	s_waitcnt vmcnt(0)
	global_store_dword v[1:2], v5, off offset:260
	global_load_dword v5, v[3:4], off offset:252
	s_waitcnt vmcnt(0)
	global_store_dword v[1:2], v5, off offset:256
	global_load_dword v5, v[3:4], off offset:248
	s_waitcnt vmcnt(0)
	global_store_dword v[1:2], v5, off offset:252
	global_load_dword v5, v[3:4], off offset:244
	s_waitcnt vmcnt(0)
	global_store_dword v[1:2], v5, off offset:248
	global_load_dword v5, v[3:4], off offset:240
	s_waitcnt vmcnt(0)
	global_store_dword v[1:2], v5, off offset:244
	global_load_dword v5, v[3:4], off offset:236
	s_waitcnt vmcnt(0)
	global_store_dword v[1:2], v5, off offset:240
	global_load_dword v5, v[3:4], off offset:232
	s_waitcnt vmcnt(0)
	global_store_dword v[1:2], v5, off offset:236
	global_load_dword v5, v[3:4], off offset:228
	s_waitcnt vmcnt(0)
	global_store_dword v[1:2], v5, off offset:232
	global_load_dword v5, v[3:4], off offset:224
	s_waitcnt vmcnt(0)
	global_store_dword v[1:2], v5, off offset:228
	global_load_dword v5, v[3:4], off offset:220
	s_waitcnt vmcnt(0)
	global_store_dword v[1:2], v5, off offset:224
	global_load_dword v5, v[3:4], off offset:216
	s_waitcnt vmcnt(0)
	global_store_dword v[1:2], v5, off offset:220
	global_load_dword v5, v[3:4], off offset:212
	s_waitcnt vmcnt(0)
	global_store_dword v[1:2], v5, off offset:216
	global_load_dword v5, v[3:4], off offset:208
	s_waitcnt vmcnt(0)
	global_store_dword v[1:2], v5, off offset:212
	global_load_dword v5, v[3:4], off offset:204
	s_waitcnt vmcnt(0)
	global_store_dword v[1:2], v5, off offset:208
	global_load_dword v5, v[3:4], off offset:200
	s_waitcnt vmcnt(0)
	global_store_dword v[1:2], v5, off offset:204
	global_load_dword v5, v[3:4], off offset:196
	s_waitcnt vmcnt(0)
	global_store_dword v[1:2], v5, off offset:200
	global_load_dword v5, v[3:4], off offset:192
	s_waitcnt vmcnt(0)
	global_store_dword v[1:2], v5, off offset:196
	global_load_dword v5, v[3:4], off offset:188
	s_waitcnt vmcnt(0)
	global_store_dword v[1:2], v5, off offset:192
	global_load_dword v5, v[3:4], off offset:184
	s_waitcnt vmcnt(0)
	global_store_dword v[1:2], v5, off offset:188
	global_load_dword v5, v[3:4], off offset:180
	s_waitcnt vmcnt(0)
	global_store_dword v[1:2], v5, off offset:184
	global_load_dword v5, v[3:4], off offset:176
	s_waitcnt vmcnt(0)
	global_store_dword v[1:2], v5, off offset:180
	global_load_dword v5, v[3:4], off offset:172
	s_waitcnt vmcnt(0)
	global_store_dword v[1:2], v5, off offset:176
	global_load_dword v5, v[3:4], off offset:168
	s_waitcnt vmcnt(0)
	global_store_dword v[1:2], v5, off offset:172
	global_load_dword v5, v[3:4], off offset:164
	s_waitcnt vmcnt(0)
	global_store_dword v[1:2], v5, off offset:168
	global_load_dword v5, v[3:4], off offset:160
	s_waitcnt vmcnt(0)
	global_store_dword v[1:2], v5, off offset:164
	global_load_dword v5, v[3:4], off offset:156
	s_waitcnt vmcnt(0)
	global_store_dword v[1:2], v5, off offset:160
	global_load_dword v5, v[3:4], off offset:152
	s_waitcnt vmcnt(0)
	global_store_dword v[1:2], v5, off offset:156
	global_load_dword v5, v[3:4], off offset:148
	s_waitcnt vmcnt(0)
	global_store_dword v[1:2], v5, off offset:152
	global_load_dword v5, v[3:4], off offset:144
	s_waitcnt vmcnt(0)
	global_store_dword v[1:2], v5, off offset:148
	global_load_dword v5, v[3:4], off offset:140
	s_waitcnt vmcnt(0)
	global_store_dword v[1:2], v5, off offset:144
	global_load_dword v5, v[3:4], off offset:136
	s_waitcnt vmcnt(0)
	global_store_dword v[1:2], v5, off offset:140
	global_load_dword v5, v[3:4], off offset:132
	s_waitcnt vmcnt(0)
	global_store_dword v[1:2], v5, off offset:136
	global_load_dword v5, v[3:4], off offset:128
	s_waitcnt vmcnt(0)
	global_store_dword v[1:2], v5, off offset:132
	global_load_dword v5, v[3:4], off offset:124
	s_waitcnt vmcnt(0)
	global_store_dword v[1:2], v5, off offset:128
	global_load_dword v5, v[3:4], off offset:120
	s_waitcnt vmcnt(0)
	global_store_dword v[1:2], v5, off offset:124
	global_load_dword v5, v[3:4], off offset:116
	s_waitcnt vmcnt(0)
	global_store_dword v[1:2], v5, off offset:120
	global_load_dword v5, v[3:4], off offset:112
	s_waitcnt vmcnt(0)
	global_store_dword v[1:2], v5, off offset:116
	global_load_dword v5, v[3:4], off offset:108
	s_waitcnt vmcnt(0)
	global_store_dword v[1:2], v5, off offset:112
	global_load_dword v5, v[3:4], off offset:104
	s_waitcnt vmcnt(0)
	global_store_dword v[1:2], v5, off offset:108
	global_load_dword v5, v[3:4], off offset:100
	s_waitcnt vmcnt(0)
	global_store_dword v[1:2], v5, off offset:104
	global_load_dword v5, v[3:4], off offset:96
	s_waitcnt vmcnt(0)
	global_store_dword v[1:2], v5, off offset:100
	global_load_dword v5, v[3:4], off offset:92
	s_waitcnt vmcnt(0)
	global_store_dword v[1:2], v5, off offset:96
	global_load_dword v5, v[3:4], off offset:88
	s_waitcnt vmcnt(0)
	global_store_dword v[1:2], v5, off offset:92
	global_load_dword v5, v[3:4], off offset:84
	s_waitcnt vmcnt(0)
	global_store_dword v[1:2], v5, off offset:88
	global_load_dword v5, v[3:4], off offset:80
	s_waitcnt vmcnt(0)
	global_store_dword v[1:2], v5, off offset:84
	global_load_dword v5, v[3:4], off offset:76
	s_waitcnt vmcnt(0)
	global_store_dword v[1:2], v5, off offset:80
	global_load_dword v5, v[3:4], off offset:72
	s_waitcnt vmcnt(0)
	global_store_dword v[1:2], v5, off offset:76
	global_load_dword v5, v[3:4], off offset:68
	s_waitcnt vmcnt(0)
	global_store_dword v[1:2], v5, off offset:72
	global_load_dword v5, v[3:4], off offset:64
	s_waitcnt vmcnt(0)
	global_store_dword v[1:2], v5, off offset:68
	global_load_dword v5, v[3:4], off offset:60
	s_waitcnt vmcnt(0)
	global_store_dword v[1:2], v5, off offset:64
	global_load_dword v5, v[3:4], off offset:56
	s_waitcnt vmcnt(0)
	global_store_dword v[1:2], v5, off offset:60
	global_load_dword v5, v[3:4], off offset:52
	s_waitcnt vmcnt(0)
	global_store_dword v[1:2], v5, off offset:56
	global_load_dword v5, v[3:4], off offset:48
	s_waitcnt vmcnt(0)
	global_store_dword v[1:2], v5, off offset:52
	global_load_dword v5, v[3:4], off offset:44
	s_waitcnt vmcnt(0)
	global_store_dword v[1:2], v5, off offset:48
	global_load_dword v5, v[3:4], off offset:40
	s_waitcnt vmcnt(0)
	global_store_dword v[1:2], v5, off offset:44
	global_load_dword v5, v[3:4], off offset:36
	s_waitcnt vmcnt(0)
	global_store_dword v[1:2], v5, off offset:40
	global_load_dword v5, v[3:4], off offset:32
	s_waitcnt vmcnt(0)
	global_store_dword v[1:2], v5, off offset:36
	global_load_dword v5, v[3:4], off offset:28
	s_waitcnt vmcnt(0)
	global_store_dword v[1:2], v5, off offset:32
	global_load_dword v5, v[3:4], off offset:24
	s_waitcnt vmcnt(0)
	global_store_dword v[1:2], v5, off offset:28
	global_load_dword v5, v[3:4], off offset:20
	s_waitcnt vmcnt(0)
	global_store_dword v[1:2], v5, off offset:24
	global_load_dword v5, v[3:4], off offset:16
	s_waitcnt vmcnt(0)
	global_store_dword v[1:2], v5, off offset:20
	global_load_dword v5, v[3:4], off offset:12
	s_waitcnt vmcnt(0)
	global_store_dword v[1:2], v5, off offset:16
	global_load_dword v5, v[3:4], off offset:8
	s_waitcnt vmcnt(0)
	global_store_dword v[1:2], v5, off offset:12
	global_load_dword v5, v[3:4], off offset:4
	s_waitcnt vmcnt(0)
	global_store_dword v[1:2], v5, off offset:8
	global_load_dword v4, v[3:4], off
	v_lshlrev_b32_e32 v3, 2, v0
	ds_write_b32 v3, v6
	s_waitcnt vmcnt(0)
	global_store_dword v[1:2], v4, off offset:4
	s_waitcnt vmcnt(0) lgkmcnt(0)
	s_barrier
	s_and_saveexec_b64 s[0:1], vcc
	s_cbranch_execz .LBB46_2
; %bb.1:
	v_add_u32_e32 v0, -4, v3
	ds_read_b32 v0, v0
	s_waitcnt lgkmcnt(0)
	global_store_dword v[1:2], v0, off
.LBB46_2:
	s_endpgm
	.section	.rodata,"a",@progbits
	.p2align	6, 0x0
	.amdhsa_kernel _Z17shuffle_up_kernelILj65ELj128EiEvPT1_S1_
		.amdhsa_group_segment_fixed_size 260
		.amdhsa_private_segment_fixed_size 0
		.amdhsa_kernarg_size 16
		.amdhsa_user_sgpr_count 6
		.amdhsa_user_sgpr_private_segment_buffer 1
		.amdhsa_user_sgpr_dispatch_ptr 0
		.amdhsa_user_sgpr_queue_ptr 0
		.amdhsa_user_sgpr_kernarg_segment_ptr 1
		.amdhsa_user_sgpr_dispatch_id 0
		.amdhsa_user_sgpr_flat_scratch_init 0
		.amdhsa_user_sgpr_private_segment_size 0
		.amdhsa_uses_dynamic_stack 0
		.amdhsa_system_sgpr_private_segment_wavefront_offset 0
		.amdhsa_system_sgpr_workgroup_id_x 1
		.amdhsa_system_sgpr_workgroup_id_y 0
		.amdhsa_system_sgpr_workgroup_id_z 0
		.amdhsa_system_sgpr_workgroup_info 0
		.amdhsa_system_vgpr_workitem_id 0
		.amdhsa_next_free_vgpr 8
		.amdhsa_next_free_sgpr 7
		.amdhsa_reserve_vcc 1
		.amdhsa_reserve_flat_scratch 0
		.amdhsa_float_round_mode_32 0
		.amdhsa_float_round_mode_16_64 0
		.amdhsa_float_denorm_mode_32 3
		.amdhsa_float_denorm_mode_16_64 3
		.amdhsa_dx10_clamp 1
		.amdhsa_ieee_mode 1
		.amdhsa_fp16_overflow 0
		.amdhsa_exception_fp_ieee_invalid_op 0
		.amdhsa_exception_fp_denorm_src 0
		.amdhsa_exception_fp_ieee_div_zero 0
		.amdhsa_exception_fp_ieee_overflow 0
		.amdhsa_exception_fp_ieee_underflow 0
		.amdhsa_exception_fp_ieee_inexact 0
		.amdhsa_exception_int_div_zero 0
	.end_amdhsa_kernel
	.section	.text._Z17shuffle_up_kernelILj65ELj128EiEvPT1_S1_,"axG",@progbits,_Z17shuffle_up_kernelILj65ELj128EiEvPT1_S1_,comdat
.Lfunc_end46:
	.size	_Z17shuffle_up_kernelILj65ELj128EiEvPT1_S1_, .Lfunc_end46-_Z17shuffle_up_kernelILj65ELj128EiEvPT1_S1_
                                        ; -- End function
	.set _Z17shuffle_up_kernelILj65ELj128EiEvPT1_S1_.num_vgpr, 8
	.set _Z17shuffle_up_kernelILj65ELj128EiEvPT1_S1_.num_agpr, 0
	.set _Z17shuffle_up_kernelILj65ELj128EiEvPT1_S1_.numbered_sgpr, 7
	.set _Z17shuffle_up_kernelILj65ELj128EiEvPT1_S1_.num_named_barrier, 0
	.set _Z17shuffle_up_kernelILj65ELj128EiEvPT1_S1_.private_seg_size, 0
	.set _Z17shuffle_up_kernelILj65ELj128EiEvPT1_S1_.uses_vcc, 1
	.set _Z17shuffle_up_kernelILj65ELj128EiEvPT1_S1_.uses_flat_scratch, 0
	.set _Z17shuffle_up_kernelILj65ELj128EiEvPT1_S1_.has_dyn_sized_stack, 0
	.set _Z17shuffle_up_kernelILj65ELj128EiEvPT1_S1_.has_recursion, 0
	.set _Z17shuffle_up_kernelILj65ELj128EiEvPT1_S1_.has_indirect_call, 0
	.section	.AMDGPU.csdata,"",@progbits
; Kernel info:
; codeLenInByte = 2660
; TotalNumSgprs: 11
; NumVgprs: 8
; ScratchSize: 0
; MemoryBound: 1
; FloatMode: 240
; IeeeMode: 1
; LDSByteSize: 260 bytes/workgroup (compile time only)
; SGPRBlocks: 1
; VGPRBlocks: 1
; NumSGPRsForWavesPerEU: 11
; NumVGPRsForWavesPerEU: 8
; Occupancy: 10
; WaveLimiterHint : 1
; COMPUTE_PGM_RSRC2:SCRATCH_EN: 0
; COMPUTE_PGM_RSRC2:USER_SGPR: 6
; COMPUTE_PGM_RSRC2:TRAP_HANDLER: 0
; COMPUTE_PGM_RSRC2:TGID_X_EN: 1
; COMPUTE_PGM_RSRC2:TGID_Y_EN: 0
; COMPUTE_PGM_RSRC2:TGID_Z_EN: 0
; COMPUTE_PGM_RSRC2:TIDIG_COMP_CNT: 0
	.section	.text._Z17shuffle_up_kernelILj512ELj128EiEvPT1_S1_,"axG",@progbits,_Z17shuffle_up_kernelILj512ELj128EiEvPT1_S1_,comdat
	.protected	_Z17shuffle_up_kernelILj512ELj128EiEvPT1_S1_ ; -- Begin function _Z17shuffle_up_kernelILj512ELj128EiEvPT1_S1_
	.globl	_Z17shuffle_up_kernelILj512ELj128EiEvPT1_S1_
	.p2align	8
	.type	_Z17shuffle_up_kernelILj512ELj128EiEvPT1_S1_,@function
_Z17shuffle_up_kernelILj512ELj128EiEvPT1_S1_: ; @_Z17shuffle_up_kernelILj512ELj128EiEvPT1_S1_
; %bb.0:
	s_load_dwordx4 s[0:3], s[4:5], 0x0
	v_lshlrev_b32_e32 v1, 7, v0
	v_lshl_or_b32 v1, s6, 16, v1
	v_mov_b32_e32 v2, 0
	v_lshlrev_b64 v[1:2], 2, v[1:2]
	s_waitcnt lgkmcnt(0)
	v_mov_b32_e32 v4, s1
	v_add_co_u32_e32 v3, vcc, s0, v1
	v_addc_co_u32_e32 v4, vcc, v4, v2, vcc
	global_load_dwordx2 v[5:6], v[3:4], off offset:504
	v_mov_b32_e32 v7, s3
	v_add_co_u32_e32 v1, vcc, s2, v1
	v_addc_co_u32_e32 v2, vcc, v7, v2, vcc
	v_cmp_ne_u32_e32 vcc, 0, v0
	s_waitcnt vmcnt(0)
	global_store_dword v[1:2], v5, off offset:508
	global_load_dword v5, v[3:4], off offset:500
	s_waitcnt vmcnt(0)
	global_store_dword v[1:2], v5, off offset:504
	global_load_dword v5, v[3:4], off offset:496
	;; [unrolled: 3-line block ×125, first 2 shown]
	s_waitcnt vmcnt(0)
	global_store_dword v[1:2], v5, off offset:8
	global_load_dword v4, v[3:4], off
	v_lshlrev_b32_e32 v3, 2, v0
	ds_write_b32 v3, v6
	s_waitcnt vmcnt(0)
	global_store_dword v[1:2], v4, off offset:4
	s_waitcnt vmcnt(0) lgkmcnt(0)
	s_barrier
	s_and_saveexec_b64 s[0:1], vcc
	s_cbranch_execz .LBB47_2
; %bb.1:
	v_add_u32_e32 v0, -4, v3
	ds_read_b32 v0, v0
	s_waitcnt lgkmcnt(0)
	global_store_dword v[1:2], v0, off
.LBB47_2:
	s_endpgm
	.section	.rodata,"a",@progbits
	.p2align	6, 0x0
	.amdhsa_kernel _Z17shuffle_up_kernelILj512ELj128EiEvPT1_S1_
		.amdhsa_group_segment_fixed_size 2048
		.amdhsa_private_segment_fixed_size 0
		.amdhsa_kernarg_size 16
		.amdhsa_user_sgpr_count 6
		.amdhsa_user_sgpr_private_segment_buffer 1
		.amdhsa_user_sgpr_dispatch_ptr 0
		.amdhsa_user_sgpr_queue_ptr 0
		.amdhsa_user_sgpr_kernarg_segment_ptr 1
		.amdhsa_user_sgpr_dispatch_id 0
		.amdhsa_user_sgpr_flat_scratch_init 0
		.amdhsa_user_sgpr_private_segment_size 0
		.amdhsa_uses_dynamic_stack 0
		.amdhsa_system_sgpr_private_segment_wavefront_offset 0
		.amdhsa_system_sgpr_workgroup_id_x 1
		.amdhsa_system_sgpr_workgroup_id_y 0
		.amdhsa_system_sgpr_workgroup_id_z 0
		.amdhsa_system_sgpr_workgroup_info 0
		.amdhsa_system_vgpr_workitem_id 0
		.amdhsa_next_free_vgpr 8
		.amdhsa_next_free_sgpr 7
		.amdhsa_reserve_vcc 1
		.amdhsa_reserve_flat_scratch 0
		.amdhsa_float_round_mode_32 0
		.amdhsa_float_round_mode_16_64 0
		.amdhsa_float_denorm_mode_32 3
		.amdhsa_float_denorm_mode_16_64 3
		.amdhsa_dx10_clamp 1
		.amdhsa_ieee_mode 1
		.amdhsa_fp16_overflow 0
		.amdhsa_exception_fp_ieee_invalid_op 0
		.amdhsa_exception_fp_denorm_src 0
		.amdhsa_exception_fp_ieee_div_zero 0
		.amdhsa_exception_fp_ieee_overflow 0
		.amdhsa_exception_fp_ieee_underflow 0
		.amdhsa_exception_fp_ieee_inexact 0
		.amdhsa_exception_int_div_zero 0
	.end_amdhsa_kernel
	.section	.text._Z17shuffle_up_kernelILj512ELj128EiEvPT1_S1_,"axG",@progbits,_Z17shuffle_up_kernelILj512ELj128EiEvPT1_S1_,comdat
.Lfunc_end47:
	.size	_Z17shuffle_up_kernelILj512ELj128EiEvPT1_S1_, .Lfunc_end47-_Z17shuffle_up_kernelILj512ELj128EiEvPT1_S1_
                                        ; -- End function
	.set _Z17shuffle_up_kernelILj512ELj128EiEvPT1_S1_.num_vgpr, 8
	.set _Z17shuffle_up_kernelILj512ELj128EiEvPT1_S1_.num_agpr, 0
	.set _Z17shuffle_up_kernelILj512ELj128EiEvPT1_S1_.numbered_sgpr, 7
	.set _Z17shuffle_up_kernelILj512ELj128EiEvPT1_S1_.num_named_barrier, 0
	.set _Z17shuffle_up_kernelILj512ELj128EiEvPT1_S1_.private_seg_size, 0
	.set _Z17shuffle_up_kernelILj512ELj128EiEvPT1_S1_.uses_vcc, 1
	.set _Z17shuffle_up_kernelILj512ELj128EiEvPT1_S1_.uses_flat_scratch, 0
	.set _Z17shuffle_up_kernelILj512ELj128EiEvPT1_S1_.has_dyn_sized_stack, 0
	.set _Z17shuffle_up_kernelILj512ELj128EiEvPT1_S1_.has_recursion, 0
	.set _Z17shuffle_up_kernelILj512ELj128EiEvPT1_S1_.has_indirect_call, 0
	.section	.AMDGPU.csdata,"",@progbits
; Kernel info:
; codeLenInByte = 2660
; TotalNumSgprs: 11
; NumVgprs: 8
; ScratchSize: 0
; MemoryBound: 1
; FloatMode: 240
; IeeeMode: 1
; LDSByteSize: 2048 bytes/workgroup (compile time only)
; SGPRBlocks: 1
; VGPRBlocks: 1
; NumSGPRsForWavesPerEU: 11
; NumVGPRsForWavesPerEU: 8
; Occupancy: 10
; WaveLimiterHint : 1
; COMPUTE_PGM_RSRC2:SCRATCH_EN: 0
; COMPUTE_PGM_RSRC2:USER_SGPR: 6
; COMPUTE_PGM_RSRC2:TRAP_HANDLER: 0
; COMPUTE_PGM_RSRC2:TGID_X_EN: 1
; COMPUTE_PGM_RSRC2:TGID_Y_EN: 0
; COMPUTE_PGM_RSRC2:TGID_Z_EN: 0
; COMPUTE_PGM_RSRC2:TIDIG_COMP_CNT: 0
	.section	.text._Z17shuffle_up_kernelILj256ELj128EiEvPT1_S1_,"axG",@progbits,_Z17shuffle_up_kernelILj256ELj128EiEvPT1_S1_,comdat
	.protected	_Z17shuffle_up_kernelILj256ELj128EiEvPT1_S1_ ; -- Begin function _Z17shuffle_up_kernelILj256ELj128EiEvPT1_S1_
	.globl	_Z17shuffle_up_kernelILj256ELj128EiEvPT1_S1_
	.p2align	8
	.type	_Z17shuffle_up_kernelILj256ELj128EiEvPT1_S1_,@function
_Z17shuffle_up_kernelILj256ELj128EiEvPT1_S1_: ; @_Z17shuffle_up_kernelILj256ELj128EiEvPT1_S1_
; %bb.0:
	s_load_dwordx4 s[0:3], s[4:5], 0x0
	v_lshlrev_b32_e32 v1, 7, v0
	v_lshl_or_b32 v1, s6, 15, v1
	v_mov_b32_e32 v2, 0
	v_lshlrev_b64 v[1:2], 2, v[1:2]
	s_waitcnt lgkmcnt(0)
	v_mov_b32_e32 v4, s1
	v_add_co_u32_e32 v3, vcc, s0, v1
	v_addc_co_u32_e32 v4, vcc, v4, v2, vcc
	global_load_dwordx2 v[5:6], v[3:4], off offset:504
	v_mov_b32_e32 v7, s3
	v_add_co_u32_e32 v1, vcc, s2, v1
	v_addc_co_u32_e32 v2, vcc, v7, v2, vcc
	v_cmp_ne_u32_e32 vcc, 0, v0
	s_waitcnt vmcnt(0)
	global_store_dword v[1:2], v5, off offset:508
	global_load_dword v5, v[3:4], off offset:500
	s_waitcnt vmcnt(0)
	global_store_dword v[1:2], v5, off offset:504
	global_load_dword v5, v[3:4], off offset:496
	;; [unrolled: 3-line block ×125, first 2 shown]
	s_waitcnt vmcnt(0)
	global_store_dword v[1:2], v5, off offset:8
	global_load_dword v4, v[3:4], off
	v_lshlrev_b32_e32 v3, 2, v0
	ds_write_b32 v3, v6
	s_waitcnt vmcnt(0)
	global_store_dword v[1:2], v4, off offset:4
	s_waitcnt vmcnt(0) lgkmcnt(0)
	s_barrier
	s_and_saveexec_b64 s[0:1], vcc
	s_cbranch_execz .LBB48_2
; %bb.1:
	v_add_u32_e32 v0, -4, v3
	ds_read_b32 v0, v0
	s_waitcnt lgkmcnt(0)
	global_store_dword v[1:2], v0, off
.LBB48_2:
	s_endpgm
	.section	.rodata,"a",@progbits
	.p2align	6, 0x0
	.amdhsa_kernel _Z17shuffle_up_kernelILj256ELj128EiEvPT1_S1_
		.amdhsa_group_segment_fixed_size 1024
		.amdhsa_private_segment_fixed_size 0
		.amdhsa_kernarg_size 16
		.amdhsa_user_sgpr_count 6
		.amdhsa_user_sgpr_private_segment_buffer 1
		.amdhsa_user_sgpr_dispatch_ptr 0
		.amdhsa_user_sgpr_queue_ptr 0
		.amdhsa_user_sgpr_kernarg_segment_ptr 1
		.amdhsa_user_sgpr_dispatch_id 0
		.amdhsa_user_sgpr_flat_scratch_init 0
		.amdhsa_user_sgpr_private_segment_size 0
		.amdhsa_uses_dynamic_stack 0
		.amdhsa_system_sgpr_private_segment_wavefront_offset 0
		.amdhsa_system_sgpr_workgroup_id_x 1
		.amdhsa_system_sgpr_workgroup_id_y 0
		.amdhsa_system_sgpr_workgroup_id_z 0
		.amdhsa_system_sgpr_workgroup_info 0
		.amdhsa_system_vgpr_workitem_id 0
		.amdhsa_next_free_vgpr 8
		.amdhsa_next_free_sgpr 7
		.amdhsa_reserve_vcc 1
		.amdhsa_reserve_flat_scratch 0
		.amdhsa_float_round_mode_32 0
		.amdhsa_float_round_mode_16_64 0
		.amdhsa_float_denorm_mode_32 3
		.amdhsa_float_denorm_mode_16_64 3
		.amdhsa_dx10_clamp 1
		.amdhsa_ieee_mode 1
		.amdhsa_fp16_overflow 0
		.amdhsa_exception_fp_ieee_invalid_op 0
		.amdhsa_exception_fp_denorm_src 0
		.amdhsa_exception_fp_ieee_div_zero 0
		.amdhsa_exception_fp_ieee_overflow 0
		.amdhsa_exception_fp_ieee_underflow 0
		.amdhsa_exception_fp_ieee_inexact 0
		.amdhsa_exception_int_div_zero 0
	.end_amdhsa_kernel
	.section	.text._Z17shuffle_up_kernelILj256ELj128EiEvPT1_S1_,"axG",@progbits,_Z17shuffle_up_kernelILj256ELj128EiEvPT1_S1_,comdat
.Lfunc_end48:
	.size	_Z17shuffle_up_kernelILj256ELj128EiEvPT1_S1_, .Lfunc_end48-_Z17shuffle_up_kernelILj256ELj128EiEvPT1_S1_
                                        ; -- End function
	.set _Z17shuffle_up_kernelILj256ELj128EiEvPT1_S1_.num_vgpr, 8
	.set _Z17shuffle_up_kernelILj256ELj128EiEvPT1_S1_.num_agpr, 0
	.set _Z17shuffle_up_kernelILj256ELj128EiEvPT1_S1_.numbered_sgpr, 7
	.set _Z17shuffle_up_kernelILj256ELj128EiEvPT1_S1_.num_named_barrier, 0
	.set _Z17shuffle_up_kernelILj256ELj128EiEvPT1_S1_.private_seg_size, 0
	.set _Z17shuffle_up_kernelILj256ELj128EiEvPT1_S1_.uses_vcc, 1
	.set _Z17shuffle_up_kernelILj256ELj128EiEvPT1_S1_.uses_flat_scratch, 0
	.set _Z17shuffle_up_kernelILj256ELj128EiEvPT1_S1_.has_dyn_sized_stack, 0
	.set _Z17shuffle_up_kernelILj256ELj128EiEvPT1_S1_.has_recursion, 0
	.set _Z17shuffle_up_kernelILj256ELj128EiEvPT1_S1_.has_indirect_call, 0
	.section	.AMDGPU.csdata,"",@progbits
; Kernel info:
; codeLenInByte = 2660
; TotalNumSgprs: 11
; NumVgprs: 8
; ScratchSize: 0
; MemoryBound: 1
; FloatMode: 240
; IeeeMode: 1
; LDSByteSize: 1024 bytes/workgroup (compile time only)
; SGPRBlocks: 1
; VGPRBlocks: 1
; NumSGPRsForWavesPerEU: 11
; NumVGPRsForWavesPerEU: 8
; Occupancy: 10
; WaveLimiterHint : 1
; COMPUTE_PGM_RSRC2:SCRATCH_EN: 0
; COMPUTE_PGM_RSRC2:USER_SGPR: 6
; COMPUTE_PGM_RSRC2:TRAP_HANDLER: 0
; COMPUTE_PGM_RSRC2:TGID_X_EN: 1
; COMPUTE_PGM_RSRC2:TGID_Y_EN: 0
; COMPUTE_PGM_RSRC2:TGID_Z_EN: 0
; COMPUTE_PGM_RSRC2:TIDIG_COMP_CNT: 0
	.section	.text._Z17shuffle_up_kernelILj128ELj128EiEvPT1_S1_,"axG",@progbits,_Z17shuffle_up_kernelILj128ELj128EiEvPT1_S1_,comdat
	.protected	_Z17shuffle_up_kernelILj128ELj128EiEvPT1_S1_ ; -- Begin function _Z17shuffle_up_kernelILj128ELj128EiEvPT1_S1_
	.globl	_Z17shuffle_up_kernelILj128ELj128EiEvPT1_S1_
	.p2align	8
	.type	_Z17shuffle_up_kernelILj128ELj128EiEvPT1_S1_,@function
_Z17shuffle_up_kernelILj128ELj128EiEvPT1_S1_: ; @_Z17shuffle_up_kernelILj128ELj128EiEvPT1_S1_
; %bb.0:
	s_load_dwordx4 s[0:3], s[4:5], 0x0
	v_lshlrev_b32_e32 v1, 7, v0
	v_lshl_or_b32 v1, s6, 14, v1
	v_mov_b32_e32 v2, 0
	v_lshlrev_b64 v[1:2], 2, v[1:2]
	s_waitcnt lgkmcnt(0)
	v_mov_b32_e32 v4, s1
	v_add_co_u32_e32 v3, vcc, s0, v1
	v_addc_co_u32_e32 v4, vcc, v4, v2, vcc
	global_load_dwordx2 v[5:6], v[3:4], off offset:504
	v_mov_b32_e32 v7, s3
	v_add_co_u32_e32 v1, vcc, s2, v1
	v_addc_co_u32_e32 v2, vcc, v7, v2, vcc
	v_cmp_ne_u32_e32 vcc, 0, v0
	s_waitcnt vmcnt(0)
	global_store_dword v[1:2], v5, off offset:508
	global_load_dword v5, v[3:4], off offset:500
	s_waitcnt vmcnt(0)
	global_store_dword v[1:2], v5, off offset:504
	global_load_dword v5, v[3:4], off offset:496
	s_waitcnt vmcnt(0)
	global_store_dword v[1:2], v5, off offset:500
	global_load_dword v5, v[3:4], off offset:492
	s_waitcnt vmcnt(0)
	global_store_dword v[1:2], v5, off offset:496
	global_load_dword v5, v[3:4], off offset:488
	s_waitcnt vmcnt(0)
	global_store_dword v[1:2], v5, off offset:492
	global_load_dword v5, v[3:4], off offset:484
	s_waitcnt vmcnt(0)
	global_store_dword v[1:2], v5, off offset:488
	global_load_dword v5, v[3:4], off offset:480
	s_waitcnt vmcnt(0)
	global_store_dword v[1:2], v5, off offset:484
	global_load_dword v5, v[3:4], off offset:476
	s_waitcnt vmcnt(0)
	global_store_dword v[1:2], v5, off offset:480
	global_load_dword v5, v[3:4], off offset:472
	s_waitcnt vmcnt(0)
	global_store_dword v[1:2], v5, off offset:476
	global_load_dword v5, v[3:4], off offset:468
	s_waitcnt vmcnt(0)
	global_store_dword v[1:2], v5, off offset:472
	global_load_dword v5, v[3:4], off offset:464
	s_waitcnt vmcnt(0)
	global_store_dword v[1:2], v5, off offset:468
	global_load_dword v5, v[3:4], off offset:460
	s_waitcnt vmcnt(0)
	global_store_dword v[1:2], v5, off offset:464
	global_load_dword v5, v[3:4], off offset:456
	s_waitcnt vmcnt(0)
	global_store_dword v[1:2], v5, off offset:460
	global_load_dword v5, v[3:4], off offset:452
	s_waitcnt vmcnt(0)
	global_store_dword v[1:2], v5, off offset:456
	global_load_dword v5, v[3:4], off offset:448
	s_waitcnt vmcnt(0)
	global_store_dword v[1:2], v5, off offset:452
	global_load_dword v5, v[3:4], off offset:444
	s_waitcnt vmcnt(0)
	global_store_dword v[1:2], v5, off offset:448
	global_load_dword v5, v[3:4], off offset:440
	s_waitcnt vmcnt(0)
	global_store_dword v[1:2], v5, off offset:444
	global_load_dword v5, v[3:4], off offset:436
	s_waitcnt vmcnt(0)
	global_store_dword v[1:2], v5, off offset:440
	global_load_dword v5, v[3:4], off offset:432
	s_waitcnt vmcnt(0)
	global_store_dword v[1:2], v5, off offset:436
	global_load_dword v5, v[3:4], off offset:428
	s_waitcnt vmcnt(0)
	global_store_dword v[1:2], v5, off offset:432
	global_load_dword v5, v[3:4], off offset:424
	s_waitcnt vmcnt(0)
	global_store_dword v[1:2], v5, off offset:428
	global_load_dword v5, v[3:4], off offset:420
	s_waitcnt vmcnt(0)
	global_store_dword v[1:2], v5, off offset:424
	global_load_dword v5, v[3:4], off offset:416
	s_waitcnt vmcnt(0)
	global_store_dword v[1:2], v5, off offset:420
	global_load_dword v5, v[3:4], off offset:412
	s_waitcnt vmcnt(0)
	global_store_dword v[1:2], v5, off offset:416
	global_load_dword v5, v[3:4], off offset:408
	s_waitcnt vmcnt(0)
	global_store_dword v[1:2], v5, off offset:412
	global_load_dword v5, v[3:4], off offset:404
	s_waitcnt vmcnt(0)
	global_store_dword v[1:2], v5, off offset:408
	global_load_dword v5, v[3:4], off offset:400
	s_waitcnt vmcnt(0)
	global_store_dword v[1:2], v5, off offset:404
	global_load_dword v5, v[3:4], off offset:396
	s_waitcnt vmcnt(0)
	global_store_dword v[1:2], v5, off offset:400
	global_load_dword v5, v[3:4], off offset:392
	s_waitcnt vmcnt(0)
	global_store_dword v[1:2], v5, off offset:396
	global_load_dword v5, v[3:4], off offset:388
	s_waitcnt vmcnt(0)
	global_store_dword v[1:2], v5, off offset:392
	global_load_dword v5, v[3:4], off offset:384
	s_waitcnt vmcnt(0)
	global_store_dword v[1:2], v5, off offset:388
	global_load_dword v5, v[3:4], off offset:380
	s_waitcnt vmcnt(0)
	global_store_dword v[1:2], v5, off offset:384
	global_load_dword v5, v[3:4], off offset:376
	s_waitcnt vmcnt(0)
	global_store_dword v[1:2], v5, off offset:380
	global_load_dword v5, v[3:4], off offset:372
	s_waitcnt vmcnt(0)
	global_store_dword v[1:2], v5, off offset:376
	global_load_dword v5, v[3:4], off offset:368
	s_waitcnt vmcnt(0)
	global_store_dword v[1:2], v5, off offset:372
	global_load_dword v5, v[3:4], off offset:364
	s_waitcnt vmcnt(0)
	global_store_dword v[1:2], v5, off offset:368
	global_load_dword v5, v[3:4], off offset:360
	s_waitcnt vmcnt(0)
	global_store_dword v[1:2], v5, off offset:364
	global_load_dword v5, v[3:4], off offset:356
	s_waitcnt vmcnt(0)
	global_store_dword v[1:2], v5, off offset:360
	global_load_dword v5, v[3:4], off offset:352
	s_waitcnt vmcnt(0)
	global_store_dword v[1:2], v5, off offset:356
	global_load_dword v5, v[3:4], off offset:348
	s_waitcnt vmcnt(0)
	global_store_dword v[1:2], v5, off offset:352
	global_load_dword v5, v[3:4], off offset:344
	s_waitcnt vmcnt(0)
	global_store_dword v[1:2], v5, off offset:348
	global_load_dword v5, v[3:4], off offset:340
	s_waitcnt vmcnt(0)
	global_store_dword v[1:2], v5, off offset:344
	global_load_dword v5, v[3:4], off offset:336
	s_waitcnt vmcnt(0)
	global_store_dword v[1:2], v5, off offset:340
	global_load_dword v5, v[3:4], off offset:332
	s_waitcnt vmcnt(0)
	global_store_dword v[1:2], v5, off offset:336
	global_load_dword v5, v[3:4], off offset:328
	s_waitcnt vmcnt(0)
	global_store_dword v[1:2], v5, off offset:332
	global_load_dword v5, v[3:4], off offset:324
	s_waitcnt vmcnt(0)
	global_store_dword v[1:2], v5, off offset:328
	global_load_dword v5, v[3:4], off offset:320
	s_waitcnt vmcnt(0)
	global_store_dword v[1:2], v5, off offset:324
	global_load_dword v5, v[3:4], off offset:316
	s_waitcnt vmcnt(0)
	global_store_dword v[1:2], v5, off offset:320
	global_load_dword v5, v[3:4], off offset:312
	s_waitcnt vmcnt(0)
	global_store_dword v[1:2], v5, off offset:316
	global_load_dword v5, v[3:4], off offset:308
	s_waitcnt vmcnt(0)
	global_store_dword v[1:2], v5, off offset:312
	global_load_dword v5, v[3:4], off offset:304
	s_waitcnt vmcnt(0)
	global_store_dword v[1:2], v5, off offset:308
	global_load_dword v5, v[3:4], off offset:300
	s_waitcnt vmcnt(0)
	global_store_dword v[1:2], v5, off offset:304
	global_load_dword v5, v[3:4], off offset:296
	s_waitcnt vmcnt(0)
	global_store_dword v[1:2], v5, off offset:300
	global_load_dword v5, v[3:4], off offset:292
	s_waitcnt vmcnt(0)
	global_store_dword v[1:2], v5, off offset:296
	global_load_dword v5, v[3:4], off offset:288
	s_waitcnt vmcnt(0)
	global_store_dword v[1:2], v5, off offset:292
	global_load_dword v5, v[3:4], off offset:284
	s_waitcnt vmcnt(0)
	global_store_dword v[1:2], v5, off offset:288
	global_load_dword v5, v[3:4], off offset:280
	s_waitcnt vmcnt(0)
	global_store_dword v[1:2], v5, off offset:284
	global_load_dword v5, v[3:4], off offset:276
	s_waitcnt vmcnt(0)
	global_store_dword v[1:2], v5, off offset:280
	global_load_dword v5, v[3:4], off offset:272
	s_waitcnt vmcnt(0)
	global_store_dword v[1:2], v5, off offset:276
	global_load_dword v5, v[3:4], off offset:268
	s_waitcnt vmcnt(0)
	global_store_dword v[1:2], v5, off offset:272
	global_load_dword v5, v[3:4], off offset:264
	s_waitcnt vmcnt(0)
	global_store_dword v[1:2], v5, off offset:268
	global_load_dword v5, v[3:4], off offset:260
	s_waitcnt vmcnt(0)
	global_store_dword v[1:2], v5, off offset:264
	global_load_dword v5, v[3:4], off offset:256
	s_waitcnt vmcnt(0)
	global_store_dword v[1:2], v5, off offset:260
	global_load_dword v5, v[3:4], off offset:252
	s_waitcnt vmcnt(0)
	global_store_dword v[1:2], v5, off offset:256
	global_load_dword v5, v[3:4], off offset:248
	s_waitcnt vmcnt(0)
	global_store_dword v[1:2], v5, off offset:252
	global_load_dword v5, v[3:4], off offset:244
	s_waitcnt vmcnt(0)
	global_store_dword v[1:2], v5, off offset:248
	global_load_dword v5, v[3:4], off offset:240
	s_waitcnt vmcnt(0)
	global_store_dword v[1:2], v5, off offset:244
	global_load_dword v5, v[3:4], off offset:236
	s_waitcnt vmcnt(0)
	global_store_dword v[1:2], v5, off offset:240
	global_load_dword v5, v[3:4], off offset:232
	s_waitcnt vmcnt(0)
	global_store_dword v[1:2], v5, off offset:236
	global_load_dword v5, v[3:4], off offset:228
	s_waitcnt vmcnt(0)
	global_store_dword v[1:2], v5, off offset:232
	global_load_dword v5, v[3:4], off offset:224
	s_waitcnt vmcnt(0)
	global_store_dword v[1:2], v5, off offset:228
	global_load_dword v5, v[3:4], off offset:220
	s_waitcnt vmcnt(0)
	global_store_dword v[1:2], v5, off offset:224
	global_load_dword v5, v[3:4], off offset:216
	s_waitcnt vmcnt(0)
	global_store_dword v[1:2], v5, off offset:220
	global_load_dword v5, v[3:4], off offset:212
	s_waitcnt vmcnt(0)
	global_store_dword v[1:2], v5, off offset:216
	global_load_dword v5, v[3:4], off offset:208
	s_waitcnt vmcnt(0)
	global_store_dword v[1:2], v5, off offset:212
	global_load_dword v5, v[3:4], off offset:204
	s_waitcnt vmcnt(0)
	global_store_dword v[1:2], v5, off offset:208
	global_load_dword v5, v[3:4], off offset:200
	s_waitcnt vmcnt(0)
	global_store_dword v[1:2], v5, off offset:204
	global_load_dword v5, v[3:4], off offset:196
	s_waitcnt vmcnt(0)
	global_store_dword v[1:2], v5, off offset:200
	global_load_dword v5, v[3:4], off offset:192
	s_waitcnt vmcnt(0)
	global_store_dword v[1:2], v5, off offset:196
	global_load_dword v5, v[3:4], off offset:188
	s_waitcnt vmcnt(0)
	global_store_dword v[1:2], v5, off offset:192
	global_load_dword v5, v[3:4], off offset:184
	s_waitcnt vmcnt(0)
	global_store_dword v[1:2], v5, off offset:188
	global_load_dword v5, v[3:4], off offset:180
	s_waitcnt vmcnt(0)
	global_store_dword v[1:2], v5, off offset:184
	global_load_dword v5, v[3:4], off offset:176
	s_waitcnt vmcnt(0)
	global_store_dword v[1:2], v5, off offset:180
	global_load_dword v5, v[3:4], off offset:172
	s_waitcnt vmcnt(0)
	global_store_dword v[1:2], v5, off offset:176
	global_load_dword v5, v[3:4], off offset:168
	s_waitcnt vmcnt(0)
	global_store_dword v[1:2], v5, off offset:172
	global_load_dword v5, v[3:4], off offset:164
	s_waitcnt vmcnt(0)
	global_store_dword v[1:2], v5, off offset:168
	global_load_dword v5, v[3:4], off offset:160
	s_waitcnt vmcnt(0)
	global_store_dword v[1:2], v5, off offset:164
	global_load_dword v5, v[3:4], off offset:156
	s_waitcnt vmcnt(0)
	global_store_dword v[1:2], v5, off offset:160
	global_load_dword v5, v[3:4], off offset:152
	s_waitcnt vmcnt(0)
	global_store_dword v[1:2], v5, off offset:156
	global_load_dword v5, v[3:4], off offset:148
	s_waitcnt vmcnt(0)
	global_store_dword v[1:2], v5, off offset:152
	global_load_dword v5, v[3:4], off offset:144
	s_waitcnt vmcnt(0)
	global_store_dword v[1:2], v5, off offset:148
	global_load_dword v5, v[3:4], off offset:140
	s_waitcnt vmcnt(0)
	global_store_dword v[1:2], v5, off offset:144
	global_load_dword v5, v[3:4], off offset:136
	s_waitcnt vmcnt(0)
	global_store_dword v[1:2], v5, off offset:140
	global_load_dword v5, v[3:4], off offset:132
	s_waitcnt vmcnt(0)
	global_store_dword v[1:2], v5, off offset:136
	global_load_dword v5, v[3:4], off offset:128
	s_waitcnt vmcnt(0)
	global_store_dword v[1:2], v5, off offset:132
	global_load_dword v5, v[3:4], off offset:124
	s_waitcnt vmcnt(0)
	global_store_dword v[1:2], v5, off offset:128
	global_load_dword v5, v[3:4], off offset:120
	s_waitcnt vmcnt(0)
	global_store_dword v[1:2], v5, off offset:124
	global_load_dword v5, v[3:4], off offset:116
	s_waitcnt vmcnt(0)
	global_store_dword v[1:2], v5, off offset:120
	global_load_dword v5, v[3:4], off offset:112
	s_waitcnt vmcnt(0)
	global_store_dword v[1:2], v5, off offset:116
	global_load_dword v5, v[3:4], off offset:108
	s_waitcnt vmcnt(0)
	global_store_dword v[1:2], v5, off offset:112
	global_load_dword v5, v[3:4], off offset:104
	s_waitcnt vmcnt(0)
	global_store_dword v[1:2], v5, off offset:108
	global_load_dword v5, v[3:4], off offset:100
	s_waitcnt vmcnt(0)
	global_store_dword v[1:2], v5, off offset:104
	global_load_dword v5, v[3:4], off offset:96
	s_waitcnt vmcnt(0)
	global_store_dword v[1:2], v5, off offset:100
	global_load_dword v5, v[3:4], off offset:92
	s_waitcnt vmcnt(0)
	global_store_dword v[1:2], v5, off offset:96
	global_load_dword v5, v[3:4], off offset:88
	s_waitcnt vmcnt(0)
	global_store_dword v[1:2], v5, off offset:92
	global_load_dword v5, v[3:4], off offset:84
	s_waitcnt vmcnt(0)
	global_store_dword v[1:2], v5, off offset:88
	global_load_dword v5, v[3:4], off offset:80
	s_waitcnt vmcnt(0)
	global_store_dword v[1:2], v5, off offset:84
	global_load_dword v5, v[3:4], off offset:76
	s_waitcnt vmcnt(0)
	global_store_dword v[1:2], v5, off offset:80
	global_load_dword v5, v[3:4], off offset:72
	s_waitcnt vmcnt(0)
	global_store_dword v[1:2], v5, off offset:76
	global_load_dword v5, v[3:4], off offset:68
	s_waitcnt vmcnt(0)
	global_store_dword v[1:2], v5, off offset:72
	global_load_dword v5, v[3:4], off offset:64
	s_waitcnt vmcnt(0)
	global_store_dword v[1:2], v5, off offset:68
	global_load_dword v5, v[3:4], off offset:60
	s_waitcnt vmcnt(0)
	global_store_dword v[1:2], v5, off offset:64
	global_load_dword v5, v[3:4], off offset:56
	s_waitcnt vmcnt(0)
	global_store_dword v[1:2], v5, off offset:60
	global_load_dword v5, v[3:4], off offset:52
	s_waitcnt vmcnt(0)
	global_store_dword v[1:2], v5, off offset:56
	global_load_dword v5, v[3:4], off offset:48
	s_waitcnt vmcnt(0)
	global_store_dword v[1:2], v5, off offset:52
	global_load_dword v5, v[3:4], off offset:44
	s_waitcnt vmcnt(0)
	global_store_dword v[1:2], v5, off offset:48
	global_load_dword v5, v[3:4], off offset:40
	s_waitcnt vmcnt(0)
	global_store_dword v[1:2], v5, off offset:44
	global_load_dword v5, v[3:4], off offset:36
	s_waitcnt vmcnt(0)
	global_store_dword v[1:2], v5, off offset:40
	global_load_dword v5, v[3:4], off offset:32
	s_waitcnt vmcnt(0)
	global_store_dword v[1:2], v5, off offset:36
	global_load_dword v5, v[3:4], off offset:28
	s_waitcnt vmcnt(0)
	global_store_dword v[1:2], v5, off offset:32
	global_load_dword v5, v[3:4], off offset:24
	s_waitcnt vmcnt(0)
	global_store_dword v[1:2], v5, off offset:28
	global_load_dword v5, v[3:4], off offset:20
	s_waitcnt vmcnt(0)
	global_store_dword v[1:2], v5, off offset:24
	global_load_dword v5, v[3:4], off offset:16
	s_waitcnt vmcnt(0)
	global_store_dword v[1:2], v5, off offset:20
	global_load_dword v5, v[3:4], off offset:12
	s_waitcnt vmcnt(0)
	global_store_dword v[1:2], v5, off offset:16
	global_load_dword v5, v[3:4], off offset:8
	s_waitcnt vmcnt(0)
	global_store_dword v[1:2], v5, off offset:12
	global_load_dword v5, v[3:4], off offset:4
	s_waitcnt vmcnt(0)
	global_store_dword v[1:2], v5, off offset:8
	global_load_dword v4, v[3:4], off
	v_lshlrev_b32_e32 v3, 2, v0
	ds_write_b32 v3, v6
	s_waitcnt vmcnt(0)
	global_store_dword v[1:2], v4, off offset:4
	s_waitcnt vmcnt(0) lgkmcnt(0)
	s_barrier
	s_and_saveexec_b64 s[0:1], vcc
	s_cbranch_execz .LBB49_2
; %bb.1:
	v_add_u32_e32 v0, -4, v3
	ds_read_b32 v0, v0
	s_waitcnt lgkmcnt(0)
	global_store_dword v[1:2], v0, off
.LBB49_2:
	s_endpgm
	.section	.rodata,"a",@progbits
	.p2align	6, 0x0
	.amdhsa_kernel _Z17shuffle_up_kernelILj128ELj128EiEvPT1_S1_
		.amdhsa_group_segment_fixed_size 512
		.amdhsa_private_segment_fixed_size 0
		.amdhsa_kernarg_size 16
		.amdhsa_user_sgpr_count 6
		.amdhsa_user_sgpr_private_segment_buffer 1
		.amdhsa_user_sgpr_dispatch_ptr 0
		.amdhsa_user_sgpr_queue_ptr 0
		.amdhsa_user_sgpr_kernarg_segment_ptr 1
		.amdhsa_user_sgpr_dispatch_id 0
		.amdhsa_user_sgpr_flat_scratch_init 0
		.amdhsa_user_sgpr_private_segment_size 0
		.amdhsa_uses_dynamic_stack 0
		.amdhsa_system_sgpr_private_segment_wavefront_offset 0
		.amdhsa_system_sgpr_workgroup_id_x 1
		.amdhsa_system_sgpr_workgroup_id_y 0
		.amdhsa_system_sgpr_workgroup_id_z 0
		.amdhsa_system_sgpr_workgroup_info 0
		.amdhsa_system_vgpr_workitem_id 0
		.amdhsa_next_free_vgpr 8
		.amdhsa_next_free_sgpr 7
		.amdhsa_reserve_vcc 1
		.amdhsa_reserve_flat_scratch 0
		.amdhsa_float_round_mode_32 0
		.amdhsa_float_round_mode_16_64 0
		.amdhsa_float_denorm_mode_32 3
		.amdhsa_float_denorm_mode_16_64 3
		.amdhsa_dx10_clamp 1
		.amdhsa_ieee_mode 1
		.amdhsa_fp16_overflow 0
		.amdhsa_exception_fp_ieee_invalid_op 0
		.amdhsa_exception_fp_denorm_src 0
		.amdhsa_exception_fp_ieee_div_zero 0
		.amdhsa_exception_fp_ieee_overflow 0
		.amdhsa_exception_fp_ieee_underflow 0
		.amdhsa_exception_fp_ieee_inexact 0
		.amdhsa_exception_int_div_zero 0
	.end_amdhsa_kernel
	.section	.text._Z17shuffle_up_kernelILj128ELj128EiEvPT1_S1_,"axG",@progbits,_Z17shuffle_up_kernelILj128ELj128EiEvPT1_S1_,comdat
.Lfunc_end49:
	.size	_Z17shuffle_up_kernelILj128ELj128EiEvPT1_S1_, .Lfunc_end49-_Z17shuffle_up_kernelILj128ELj128EiEvPT1_S1_
                                        ; -- End function
	.set _Z17shuffle_up_kernelILj128ELj128EiEvPT1_S1_.num_vgpr, 8
	.set _Z17shuffle_up_kernelILj128ELj128EiEvPT1_S1_.num_agpr, 0
	.set _Z17shuffle_up_kernelILj128ELj128EiEvPT1_S1_.numbered_sgpr, 7
	.set _Z17shuffle_up_kernelILj128ELj128EiEvPT1_S1_.num_named_barrier, 0
	.set _Z17shuffle_up_kernelILj128ELj128EiEvPT1_S1_.private_seg_size, 0
	.set _Z17shuffle_up_kernelILj128ELj128EiEvPT1_S1_.uses_vcc, 1
	.set _Z17shuffle_up_kernelILj128ELj128EiEvPT1_S1_.uses_flat_scratch, 0
	.set _Z17shuffle_up_kernelILj128ELj128EiEvPT1_S1_.has_dyn_sized_stack, 0
	.set _Z17shuffle_up_kernelILj128ELj128EiEvPT1_S1_.has_recursion, 0
	.set _Z17shuffle_up_kernelILj128ELj128EiEvPT1_S1_.has_indirect_call, 0
	.section	.AMDGPU.csdata,"",@progbits
; Kernel info:
; codeLenInByte = 2660
; TotalNumSgprs: 11
; NumVgprs: 8
; ScratchSize: 0
; MemoryBound: 1
; FloatMode: 240
; IeeeMode: 1
; LDSByteSize: 512 bytes/workgroup (compile time only)
; SGPRBlocks: 1
; VGPRBlocks: 1
; NumSGPRsForWavesPerEU: 11
; NumVGPRsForWavesPerEU: 8
; Occupancy: 10
; WaveLimiterHint : 1
; COMPUTE_PGM_RSRC2:SCRATCH_EN: 0
; COMPUTE_PGM_RSRC2:USER_SGPR: 6
; COMPUTE_PGM_RSRC2:TRAP_HANDLER: 0
; COMPUTE_PGM_RSRC2:TGID_X_EN: 1
; COMPUTE_PGM_RSRC2:TGID_Y_EN: 0
; COMPUTE_PGM_RSRC2:TGID_Z_EN: 0
; COMPUTE_PGM_RSRC2:TIDIG_COMP_CNT: 0
	.section	.text._Z17shuffle_up_kernelILj64ELj128EiEvPT1_S1_,"axG",@progbits,_Z17shuffle_up_kernelILj64ELj128EiEvPT1_S1_,comdat
	.protected	_Z17shuffle_up_kernelILj64ELj128EiEvPT1_S1_ ; -- Begin function _Z17shuffle_up_kernelILj64ELj128EiEvPT1_S1_
	.globl	_Z17shuffle_up_kernelILj64ELj128EiEvPT1_S1_
	.p2align	8
	.type	_Z17shuffle_up_kernelILj64ELj128EiEvPT1_S1_,@function
_Z17shuffle_up_kernelILj64ELj128EiEvPT1_S1_: ; @_Z17shuffle_up_kernelILj64ELj128EiEvPT1_S1_
; %bb.0:
	s_load_dwordx4 s[0:3], s[4:5], 0x0
	v_lshlrev_b32_e32 v1, 7, v0
	v_lshl_or_b32 v1, s6, 13, v1
	v_mov_b32_e32 v2, 0
	v_lshlrev_b64 v[1:2], 2, v[1:2]
	s_waitcnt lgkmcnt(0)
	v_mov_b32_e32 v4, s1
	v_add_co_u32_e32 v3, vcc, s0, v1
	v_addc_co_u32_e32 v4, vcc, v4, v2, vcc
	global_load_dwordx2 v[5:6], v[3:4], off offset:504
	v_mov_b32_e32 v7, s3
	v_add_co_u32_e32 v1, vcc, s2, v1
	v_addc_co_u32_e32 v2, vcc, v7, v2, vcc
	v_cmp_ne_u32_e32 vcc, 0, v0
	s_waitcnt vmcnt(0)
	global_store_dword v[1:2], v5, off offset:508
	global_load_dword v5, v[3:4], off offset:500
	s_waitcnt vmcnt(0)
	global_store_dword v[1:2], v5, off offset:504
	global_load_dword v5, v[3:4], off offset:496
	;; [unrolled: 3-line block ×125, first 2 shown]
	s_waitcnt vmcnt(0)
	global_store_dword v[1:2], v5, off offset:8
	global_load_dword v4, v[3:4], off
	v_lshlrev_b32_e32 v3, 2, v0
	ds_write_b32 v3, v6
	s_waitcnt vmcnt(0)
	global_store_dword v[1:2], v4, off offset:4
	s_waitcnt lgkmcnt(0)
	; wave barrier
	s_and_saveexec_b64 s[0:1], vcc
	s_cbranch_execz .LBB50_2
; %bb.1:
	v_add_u32_e32 v0, -4, v3
	ds_read_b32 v0, v0
	s_waitcnt lgkmcnt(0)
	global_store_dword v[1:2], v0, off
.LBB50_2:
	s_endpgm
	.section	.rodata,"a",@progbits
	.p2align	6, 0x0
	.amdhsa_kernel _Z17shuffle_up_kernelILj64ELj128EiEvPT1_S1_
		.amdhsa_group_segment_fixed_size 256
		.amdhsa_private_segment_fixed_size 0
		.amdhsa_kernarg_size 16
		.amdhsa_user_sgpr_count 6
		.amdhsa_user_sgpr_private_segment_buffer 1
		.amdhsa_user_sgpr_dispatch_ptr 0
		.amdhsa_user_sgpr_queue_ptr 0
		.amdhsa_user_sgpr_kernarg_segment_ptr 1
		.amdhsa_user_sgpr_dispatch_id 0
		.amdhsa_user_sgpr_flat_scratch_init 0
		.amdhsa_user_sgpr_private_segment_size 0
		.amdhsa_uses_dynamic_stack 0
		.amdhsa_system_sgpr_private_segment_wavefront_offset 0
		.amdhsa_system_sgpr_workgroup_id_x 1
		.amdhsa_system_sgpr_workgroup_id_y 0
		.amdhsa_system_sgpr_workgroup_id_z 0
		.amdhsa_system_sgpr_workgroup_info 0
		.amdhsa_system_vgpr_workitem_id 0
		.amdhsa_next_free_vgpr 8
		.amdhsa_next_free_sgpr 7
		.amdhsa_reserve_vcc 1
		.amdhsa_reserve_flat_scratch 0
		.amdhsa_float_round_mode_32 0
		.amdhsa_float_round_mode_16_64 0
		.amdhsa_float_denorm_mode_32 3
		.amdhsa_float_denorm_mode_16_64 3
		.amdhsa_dx10_clamp 1
		.amdhsa_ieee_mode 1
		.amdhsa_fp16_overflow 0
		.amdhsa_exception_fp_ieee_invalid_op 0
		.amdhsa_exception_fp_denorm_src 0
		.amdhsa_exception_fp_ieee_div_zero 0
		.amdhsa_exception_fp_ieee_overflow 0
		.amdhsa_exception_fp_ieee_underflow 0
		.amdhsa_exception_fp_ieee_inexact 0
		.amdhsa_exception_int_div_zero 0
	.end_amdhsa_kernel
	.section	.text._Z17shuffle_up_kernelILj64ELj128EiEvPT1_S1_,"axG",@progbits,_Z17shuffle_up_kernelILj64ELj128EiEvPT1_S1_,comdat
.Lfunc_end50:
	.size	_Z17shuffle_up_kernelILj64ELj128EiEvPT1_S1_, .Lfunc_end50-_Z17shuffle_up_kernelILj64ELj128EiEvPT1_S1_
                                        ; -- End function
	.set _Z17shuffle_up_kernelILj64ELj128EiEvPT1_S1_.num_vgpr, 8
	.set _Z17shuffle_up_kernelILj64ELj128EiEvPT1_S1_.num_agpr, 0
	.set _Z17shuffle_up_kernelILj64ELj128EiEvPT1_S1_.numbered_sgpr, 7
	.set _Z17shuffle_up_kernelILj64ELj128EiEvPT1_S1_.num_named_barrier, 0
	.set _Z17shuffle_up_kernelILj64ELj128EiEvPT1_S1_.private_seg_size, 0
	.set _Z17shuffle_up_kernelILj64ELj128EiEvPT1_S1_.uses_vcc, 1
	.set _Z17shuffle_up_kernelILj64ELj128EiEvPT1_S1_.uses_flat_scratch, 0
	.set _Z17shuffle_up_kernelILj64ELj128EiEvPT1_S1_.has_dyn_sized_stack, 0
	.set _Z17shuffle_up_kernelILj64ELj128EiEvPT1_S1_.has_recursion, 0
	.set _Z17shuffle_up_kernelILj64ELj128EiEvPT1_S1_.has_indirect_call, 0
	.section	.AMDGPU.csdata,"",@progbits
; Kernel info:
; codeLenInByte = 2656
; TotalNumSgprs: 11
; NumVgprs: 8
; ScratchSize: 0
; MemoryBound: 1
; FloatMode: 240
; IeeeMode: 1
; LDSByteSize: 256 bytes/workgroup (compile time only)
; SGPRBlocks: 1
; VGPRBlocks: 1
; NumSGPRsForWavesPerEU: 11
; NumVGPRsForWavesPerEU: 8
; Occupancy: 10
; WaveLimiterHint : 1
; COMPUTE_PGM_RSRC2:SCRATCH_EN: 0
; COMPUTE_PGM_RSRC2:USER_SGPR: 6
; COMPUTE_PGM_RSRC2:TRAP_HANDLER: 0
; COMPUTE_PGM_RSRC2:TGID_X_EN: 1
; COMPUTE_PGM_RSRC2:TGID_Y_EN: 0
; COMPUTE_PGM_RSRC2:TGID_Z_EN: 0
; COMPUTE_PGM_RSRC2:TIDIG_COMP_CNT: 0
	.section	.text._Z19shuffle_down_kernelILj32ELj128E12hip_bfloat16EvPT1_S2_,"axG",@progbits,_Z19shuffle_down_kernelILj32ELj128E12hip_bfloat16EvPT1_S2_,comdat
	.protected	_Z19shuffle_down_kernelILj32ELj128E12hip_bfloat16EvPT1_S2_ ; -- Begin function _Z19shuffle_down_kernelILj32ELj128E12hip_bfloat16EvPT1_S2_
	.globl	_Z19shuffle_down_kernelILj32ELj128E12hip_bfloat16EvPT1_S2_
	.p2align	8
	.type	_Z19shuffle_down_kernelILj32ELj128E12hip_bfloat16EvPT1_S2_,@function
_Z19shuffle_down_kernelILj32ELj128E12hip_bfloat16EvPT1_S2_: ; @_Z19shuffle_down_kernelILj32ELj128E12hip_bfloat16EvPT1_S2_
; %bb.0:
	s_load_dwordx4 s[0:3], s[4:5], 0x0
	v_lshlrev_b32_e32 v1, 7, v0
	v_lshl_or_b32 v1, s6, 12, v1
	v_mov_b32_e32 v2, 0
	v_lshlrev_b64 v[1:2], 1, v[1:2]
	s_waitcnt lgkmcnt(0)
	v_mov_b32_e32 v4, s1
	v_add_co_u32_e32 v3, vcc, s0, v1
	v_addc_co_u32_e32 v4, vcc, v4, v2, vcc
	global_load_dword v5, v[3:4], off
	v_mov_b32_e32 v6, s3
	v_add_co_u32_e32 v1, vcc, s2, v1
	v_addc_co_u32_e32 v2, vcc, v6, v2, vcc
	v_cmp_gt_u32_e32 vcc, 31, v0
	s_waitcnt vmcnt(0)
	global_store_short_d16_hi v[1:2], v5, off
	global_load_ushort v6, v[3:4], off offset:4
	s_waitcnt vmcnt(0)
	global_store_short v[1:2], v6, off offset:2
	global_load_ushort v6, v[3:4], off offset:6
	s_waitcnt vmcnt(0)
	global_store_short v[1:2], v6, off offset:4
	;; [unrolled: 3-line block ×125, first 2 shown]
	global_load_ushort v4, v[3:4], off offset:254
	v_lshlrev_b32_e32 v3, 1, v0
	ds_write_b16 v3, v5
	s_waitcnt vmcnt(0)
	global_store_short v[1:2], v4, off offset:252
	s_waitcnt lgkmcnt(0)
	; wave barrier
	s_and_saveexec_b64 s[0:1], vcc
	s_cbranch_execz .LBB51_2
; %bb.1:
	ds_read_u16 v0, v3 offset:2
	s_waitcnt lgkmcnt(0)
	global_store_short v[1:2], v0, off offset:254
.LBB51_2:
	s_endpgm
	.section	.rodata,"a",@progbits
	.p2align	6, 0x0
	.amdhsa_kernel _Z19shuffle_down_kernelILj32ELj128E12hip_bfloat16EvPT1_S2_
		.amdhsa_group_segment_fixed_size 64
		.amdhsa_private_segment_fixed_size 0
		.amdhsa_kernarg_size 16
		.amdhsa_user_sgpr_count 6
		.amdhsa_user_sgpr_private_segment_buffer 1
		.amdhsa_user_sgpr_dispatch_ptr 0
		.amdhsa_user_sgpr_queue_ptr 0
		.amdhsa_user_sgpr_kernarg_segment_ptr 1
		.amdhsa_user_sgpr_dispatch_id 0
		.amdhsa_user_sgpr_flat_scratch_init 0
		.amdhsa_user_sgpr_private_segment_size 0
		.amdhsa_uses_dynamic_stack 0
		.amdhsa_system_sgpr_private_segment_wavefront_offset 0
		.amdhsa_system_sgpr_workgroup_id_x 1
		.amdhsa_system_sgpr_workgroup_id_y 0
		.amdhsa_system_sgpr_workgroup_id_z 0
		.amdhsa_system_sgpr_workgroup_info 0
		.amdhsa_system_vgpr_workitem_id 0
		.amdhsa_next_free_vgpr 7
		.amdhsa_next_free_sgpr 7
		.amdhsa_reserve_vcc 1
		.amdhsa_reserve_flat_scratch 0
		.amdhsa_float_round_mode_32 0
		.amdhsa_float_round_mode_16_64 0
		.amdhsa_float_denorm_mode_32 3
		.amdhsa_float_denorm_mode_16_64 3
		.amdhsa_dx10_clamp 1
		.amdhsa_ieee_mode 1
		.amdhsa_fp16_overflow 0
		.amdhsa_exception_fp_ieee_invalid_op 0
		.amdhsa_exception_fp_denorm_src 0
		.amdhsa_exception_fp_ieee_div_zero 0
		.amdhsa_exception_fp_ieee_overflow 0
		.amdhsa_exception_fp_ieee_underflow 0
		.amdhsa_exception_fp_ieee_inexact 0
		.amdhsa_exception_int_div_zero 0
	.end_amdhsa_kernel
	.section	.text._Z19shuffle_down_kernelILj32ELj128E12hip_bfloat16EvPT1_S2_,"axG",@progbits,_Z19shuffle_down_kernelILj32ELj128E12hip_bfloat16EvPT1_S2_,comdat
.Lfunc_end51:
	.size	_Z19shuffle_down_kernelILj32ELj128E12hip_bfloat16EvPT1_S2_, .Lfunc_end51-_Z19shuffle_down_kernelILj32ELj128E12hip_bfloat16EvPT1_S2_
                                        ; -- End function
	.set _Z19shuffle_down_kernelILj32ELj128E12hip_bfloat16EvPT1_S2_.num_vgpr, 7
	.set _Z19shuffle_down_kernelILj32ELj128E12hip_bfloat16EvPT1_S2_.num_agpr, 0
	.set _Z19shuffle_down_kernelILj32ELj128E12hip_bfloat16EvPT1_S2_.numbered_sgpr, 7
	.set _Z19shuffle_down_kernelILj32ELj128E12hip_bfloat16EvPT1_S2_.num_named_barrier, 0
	.set _Z19shuffle_down_kernelILj32ELj128E12hip_bfloat16EvPT1_S2_.private_seg_size, 0
	.set _Z19shuffle_down_kernelILj32ELj128E12hip_bfloat16EvPT1_S2_.uses_vcc, 1
	.set _Z19shuffle_down_kernelILj32ELj128E12hip_bfloat16EvPT1_S2_.uses_flat_scratch, 0
	.set _Z19shuffle_down_kernelILj32ELj128E12hip_bfloat16EvPT1_S2_.has_dyn_sized_stack, 0
	.set _Z19shuffle_down_kernelILj32ELj128E12hip_bfloat16EvPT1_S2_.has_recursion, 0
	.set _Z19shuffle_down_kernelILj32ELj128E12hip_bfloat16EvPT1_S2_.has_indirect_call, 0
	.section	.AMDGPU.csdata,"",@progbits
; Kernel info:
; codeLenInByte = 2652
; TotalNumSgprs: 11
; NumVgprs: 7
; ScratchSize: 0
; MemoryBound: 1
; FloatMode: 240
; IeeeMode: 1
; LDSByteSize: 64 bytes/workgroup (compile time only)
; SGPRBlocks: 1
; VGPRBlocks: 1
; NumSGPRsForWavesPerEU: 11
; NumVGPRsForWavesPerEU: 7
; Occupancy: 10
; WaveLimiterHint : 1
; COMPUTE_PGM_RSRC2:SCRATCH_EN: 0
; COMPUTE_PGM_RSRC2:USER_SGPR: 6
; COMPUTE_PGM_RSRC2:TRAP_HANDLER: 0
; COMPUTE_PGM_RSRC2:TGID_X_EN: 1
; COMPUTE_PGM_RSRC2:TGID_Y_EN: 0
; COMPUTE_PGM_RSRC2:TGID_Z_EN: 0
; COMPUTE_PGM_RSRC2:TIDIG_COMP_CNT: 0
	.section	.text._Z19shuffle_down_kernelILj32ELj128E6__halfEvPT1_S2_,"axG",@progbits,_Z19shuffle_down_kernelILj32ELj128E6__halfEvPT1_S2_,comdat
	.protected	_Z19shuffle_down_kernelILj32ELj128E6__halfEvPT1_S2_ ; -- Begin function _Z19shuffle_down_kernelILj32ELj128E6__halfEvPT1_S2_
	.globl	_Z19shuffle_down_kernelILj32ELj128E6__halfEvPT1_S2_
	.p2align	8
	.type	_Z19shuffle_down_kernelILj32ELj128E6__halfEvPT1_S2_,@function
_Z19shuffle_down_kernelILj32ELj128E6__halfEvPT1_S2_: ; @_Z19shuffle_down_kernelILj32ELj128E6__halfEvPT1_S2_
; %bb.0:
	s_load_dwordx4 s[0:3], s[4:5], 0x0
	v_lshlrev_b32_e32 v1, 7, v0
	v_lshl_or_b32 v1, s6, 12, v1
	v_mov_b32_e32 v2, 0
	v_lshlrev_b64 v[1:2], 1, v[1:2]
	s_waitcnt lgkmcnt(0)
	v_mov_b32_e32 v4, s1
	v_add_co_u32_e32 v3, vcc, s0, v1
	v_addc_co_u32_e32 v4, vcc, v4, v2, vcc
	global_load_dword v5, v[3:4], off
	v_mov_b32_e32 v6, s3
	v_add_co_u32_e32 v1, vcc, s2, v1
	v_addc_co_u32_e32 v2, vcc, v6, v2, vcc
	v_cmp_gt_u32_e32 vcc, 31, v0
	s_waitcnt vmcnt(0)
	global_store_short_d16_hi v[1:2], v5, off
	global_load_ushort v6, v[3:4], off offset:4
	s_waitcnt vmcnt(0)
	global_store_short v[1:2], v6, off offset:2
	global_load_ushort v6, v[3:4], off offset:6
	s_waitcnt vmcnt(0)
	global_store_short v[1:2], v6, off offset:4
	;; [unrolled: 3-line block ×125, first 2 shown]
	global_load_ushort v4, v[3:4], off offset:254
	v_lshlrev_b32_e32 v3, 1, v0
	ds_write_b16 v3, v5
	s_waitcnt vmcnt(0)
	global_store_short v[1:2], v4, off offset:252
	s_waitcnt lgkmcnt(0)
	; wave barrier
	s_and_saveexec_b64 s[0:1], vcc
	s_cbranch_execz .LBB52_2
; %bb.1:
	ds_read_u16 v0, v3 offset:2
	s_waitcnt lgkmcnt(0)
	global_store_short v[1:2], v0, off offset:254
.LBB52_2:
	s_endpgm
	.section	.rodata,"a",@progbits
	.p2align	6, 0x0
	.amdhsa_kernel _Z19shuffle_down_kernelILj32ELj128E6__halfEvPT1_S2_
		.amdhsa_group_segment_fixed_size 64
		.amdhsa_private_segment_fixed_size 0
		.amdhsa_kernarg_size 16
		.amdhsa_user_sgpr_count 6
		.amdhsa_user_sgpr_private_segment_buffer 1
		.amdhsa_user_sgpr_dispatch_ptr 0
		.amdhsa_user_sgpr_queue_ptr 0
		.amdhsa_user_sgpr_kernarg_segment_ptr 1
		.amdhsa_user_sgpr_dispatch_id 0
		.amdhsa_user_sgpr_flat_scratch_init 0
		.amdhsa_user_sgpr_private_segment_size 0
		.amdhsa_uses_dynamic_stack 0
		.amdhsa_system_sgpr_private_segment_wavefront_offset 0
		.amdhsa_system_sgpr_workgroup_id_x 1
		.amdhsa_system_sgpr_workgroup_id_y 0
		.amdhsa_system_sgpr_workgroup_id_z 0
		.amdhsa_system_sgpr_workgroup_info 0
		.amdhsa_system_vgpr_workitem_id 0
		.amdhsa_next_free_vgpr 7
		.amdhsa_next_free_sgpr 7
		.amdhsa_reserve_vcc 1
		.amdhsa_reserve_flat_scratch 0
		.amdhsa_float_round_mode_32 0
		.amdhsa_float_round_mode_16_64 0
		.amdhsa_float_denorm_mode_32 3
		.amdhsa_float_denorm_mode_16_64 3
		.amdhsa_dx10_clamp 1
		.amdhsa_ieee_mode 1
		.amdhsa_fp16_overflow 0
		.amdhsa_exception_fp_ieee_invalid_op 0
		.amdhsa_exception_fp_denorm_src 0
		.amdhsa_exception_fp_ieee_div_zero 0
		.amdhsa_exception_fp_ieee_overflow 0
		.amdhsa_exception_fp_ieee_underflow 0
		.amdhsa_exception_fp_ieee_inexact 0
		.amdhsa_exception_int_div_zero 0
	.end_amdhsa_kernel
	.section	.text._Z19shuffle_down_kernelILj32ELj128E6__halfEvPT1_S2_,"axG",@progbits,_Z19shuffle_down_kernelILj32ELj128E6__halfEvPT1_S2_,comdat
.Lfunc_end52:
	.size	_Z19shuffle_down_kernelILj32ELj128E6__halfEvPT1_S2_, .Lfunc_end52-_Z19shuffle_down_kernelILj32ELj128E6__halfEvPT1_S2_
                                        ; -- End function
	.set _Z19shuffle_down_kernelILj32ELj128E6__halfEvPT1_S2_.num_vgpr, 7
	.set _Z19shuffle_down_kernelILj32ELj128E6__halfEvPT1_S2_.num_agpr, 0
	.set _Z19shuffle_down_kernelILj32ELj128E6__halfEvPT1_S2_.numbered_sgpr, 7
	.set _Z19shuffle_down_kernelILj32ELj128E6__halfEvPT1_S2_.num_named_barrier, 0
	.set _Z19shuffle_down_kernelILj32ELj128E6__halfEvPT1_S2_.private_seg_size, 0
	.set _Z19shuffle_down_kernelILj32ELj128E6__halfEvPT1_S2_.uses_vcc, 1
	.set _Z19shuffle_down_kernelILj32ELj128E6__halfEvPT1_S2_.uses_flat_scratch, 0
	.set _Z19shuffle_down_kernelILj32ELj128E6__halfEvPT1_S2_.has_dyn_sized_stack, 0
	.set _Z19shuffle_down_kernelILj32ELj128E6__halfEvPT1_S2_.has_recursion, 0
	.set _Z19shuffle_down_kernelILj32ELj128E6__halfEvPT1_S2_.has_indirect_call, 0
	.section	.AMDGPU.csdata,"",@progbits
; Kernel info:
; codeLenInByte = 2652
; TotalNumSgprs: 11
; NumVgprs: 7
; ScratchSize: 0
; MemoryBound: 1
; FloatMode: 240
; IeeeMode: 1
; LDSByteSize: 64 bytes/workgroup (compile time only)
; SGPRBlocks: 1
; VGPRBlocks: 1
; NumSGPRsForWavesPerEU: 11
; NumVGPRsForWavesPerEU: 7
; Occupancy: 10
; WaveLimiterHint : 1
; COMPUTE_PGM_RSRC2:SCRATCH_EN: 0
; COMPUTE_PGM_RSRC2:USER_SGPR: 6
; COMPUTE_PGM_RSRC2:TRAP_HANDLER: 0
; COMPUTE_PGM_RSRC2:TGID_X_EN: 1
; COMPUTE_PGM_RSRC2:TGID_Y_EN: 0
; COMPUTE_PGM_RSRC2:TGID_Z_EN: 0
; COMPUTE_PGM_RSRC2:TIDIG_COMP_CNT: 0
	.section	.text._Z19shuffle_down_kernelILj32ELj128EfEvPT1_S1_,"axG",@progbits,_Z19shuffle_down_kernelILj32ELj128EfEvPT1_S1_,comdat
	.protected	_Z19shuffle_down_kernelILj32ELj128EfEvPT1_S1_ ; -- Begin function _Z19shuffle_down_kernelILj32ELj128EfEvPT1_S1_
	.globl	_Z19shuffle_down_kernelILj32ELj128EfEvPT1_S1_
	.p2align	8
	.type	_Z19shuffle_down_kernelILj32ELj128EfEvPT1_S1_,@function
_Z19shuffle_down_kernelILj32ELj128EfEvPT1_S1_: ; @_Z19shuffle_down_kernelILj32ELj128EfEvPT1_S1_
; %bb.0:
	s_load_dwordx4 s[0:3], s[4:5], 0x0
	v_lshlrev_b32_e32 v1, 7, v0
	v_lshl_or_b32 v1, s6, 12, v1
	v_mov_b32_e32 v2, 0
	v_lshlrev_b64 v[1:2], 2, v[1:2]
	s_waitcnt lgkmcnt(0)
	v_mov_b32_e32 v4, s1
	v_add_co_u32_e32 v3, vcc, s0, v1
	v_addc_co_u32_e32 v4, vcc, v4, v2, vcc
	global_load_dwordx2 v[5:6], v[3:4], off
	v_mov_b32_e32 v7, s3
	v_add_co_u32_e32 v1, vcc, s2, v1
	v_addc_co_u32_e32 v2, vcc, v7, v2, vcc
	v_cmp_gt_u32_e32 vcc, 31, v0
	s_waitcnt vmcnt(0)
	global_store_dword v[1:2], v6, off
	global_load_dword v6, v[3:4], off offset:8
	s_waitcnt vmcnt(0)
	global_store_dword v[1:2], v6, off offset:4
	global_load_dword v6, v[3:4], off offset:12
	s_waitcnt vmcnt(0)
	global_store_dword v[1:2], v6, off offset:8
	;; [unrolled: 3-line block ×125, first 2 shown]
	global_load_dword v4, v[3:4], off offset:508
	v_lshlrev_b32_e32 v3, 2, v0
	ds_write_b32 v3, v5
	s_waitcnt vmcnt(0)
	global_store_dword v[1:2], v4, off offset:504
	s_waitcnt lgkmcnt(0)
	; wave barrier
	s_and_saveexec_b64 s[0:1], vcc
	s_cbranch_execz .LBB53_2
; %bb.1:
	ds_read_b32 v0, v3 offset:4
	s_waitcnt lgkmcnt(0)
	global_store_dword v[1:2], v0, off offset:508
.LBB53_2:
	s_endpgm
	.section	.rodata,"a",@progbits
	.p2align	6, 0x0
	.amdhsa_kernel _Z19shuffle_down_kernelILj32ELj128EfEvPT1_S1_
		.amdhsa_group_segment_fixed_size 128
		.amdhsa_private_segment_fixed_size 0
		.amdhsa_kernarg_size 16
		.amdhsa_user_sgpr_count 6
		.amdhsa_user_sgpr_private_segment_buffer 1
		.amdhsa_user_sgpr_dispatch_ptr 0
		.amdhsa_user_sgpr_queue_ptr 0
		.amdhsa_user_sgpr_kernarg_segment_ptr 1
		.amdhsa_user_sgpr_dispatch_id 0
		.amdhsa_user_sgpr_flat_scratch_init 0
		.amdhsa_user_sgpr_private_segment_size 0
		.amdhsa_uses_dynamic_stack 0
		.amdhsa_system_sgpr_private_segment_wavefront_offset 0
		.amdhsa_system_sgpr_workgroup_id_x 1
		.amdhsa_system_sgpr_workgroup_id_y 0
		.amdhsa_system_sgpr_workgroup_id_z 0
		.amdhsa_system_sgpr_workgroup_info 0
		.amdhsa_system_vgpr_workitem_id 0
		.amdhsa_next_free_vgpr 8
		.amdhsa_next_free_sgpr 7
		.amdhsa_reserve_vcc 1
		.amdhsa_reserve_flat_scratch 0
		.amdhsa_float_round_mode_32 0
		.amdhsa_float_round_mode_16_64 0
		.amdhsa_float_denorm_mode_32 3
		.amdhsa_float_denorm_mode_16_64 3
		.amdhsa_dx10_clamp 1
		.amdhsa_ieee_mode 1
		.amdhsa_fp16_overflow 0
		.amdhsa_exception_fp_ieee_invalid_op 0
		.amdhsa_exception_fp_denorm_src 0
		.amdhsa_exception_fp_ieee_div_zero 0
		.amdhsa_exception_fp_ieee_overflow 0
		.amdhsa_exception_fp_ieee_underflow 0
		.amdhsa_exception_fp_ieee_inexact 0
		.amdhsa_exception_int_div_zero 0
	.end_amdhsa_kernel
	.section	.text._Z19shuffle_down_kernelILj32ELj128EfEvPT1_S1_,"axG",@progbits,_Z19shuffle_down_kernelILj32ELj128EfEvPT1_S1_,comdat
.Lfunc_end53:
	.size	_Z19shuffle_down_kernelILj32ELj128EfEvPT1_S1_, .Lfunc_end53-_Z19shuffle_down_kernelILj32ELj128EfEvPT1_S1_
                                        ; -- End function
	.set _Z19shuffle_down_kernelILj32ELj128EfEvPT1_S1_.num_vgpr, 8
	.set _Z19shuffle_down_kernelILj32ELj128EfEvPT1_S1_.num_agpr, 0
	.set _Z19shuffle_down_kernelILj32ELj128EfEvPT1_S1_.numbered_sgpr, 7
	.set _Z19shuffle_down_kernelILj32ELj128EfEvPT1_S1_.num_named_barrier, 0
	.set _Z19shuffle_down_kernelILj32ELj128EfEvPT1_S1_.private_seg_size, 0
	.set _Z19shuffle_down_kernelILj32ELj128EfEvPT1_S1_.uses_vcc, 1
	.set _Z19shuffle_down_kernelILj32ELj128EfEvPT1_S1_.uses_flat_scratch, 0
	.set _Z19shuffle_down_kernelILj32ELj128EfEvPT1_S1_.has_dyn_sized_stack, 0
	.set _Z19shuffle_down_kernelILj32ELj128EfEvPT1_S1_.has_recursion, 0
	.set _Z19shuffle_down_kernelILj32ELj128EfEvPT1_S1_.has_indirect_call, 0
	.section	.AMDGPU.csdata,"",@progbits
; Kernel info:
; codeLenInByte = 2652
; TotalNumSgprs: 11
; NumVgprs: 8
; ScratchSize: 0
; MemoryBound: 1
; FloatMode: 240
; IeeeMode: 1
; LDSByteSize: 128 bytes/workgroup (compile time only)
; SGPRBlocks: 1
; VGPRBlocks: 1
; NumSGPRsForWavesPerEU: 11
; NumVGPRsForWavesPerEU: 8
; Occupancy: 10
; WaveLimiterHint : 1
; COMPUTE_PGM_RSRC2:SCRATCH_EN: 0
; COMPUTE_PGM_RSRC2:USER_SGPR: 6
; COMPUTE_PGM_RSRC2:TRAP_HANDLER: 0
; COMPUTE_PGM_RSRC2:TGID_X_EN: 1
; COMPUTE_PGM_RSRC2:TGID_Y_EN: 0
; COMPUTE_PGM_RSRC2:TGID_Z_EN: 0
; COMPUTE_PGM_RSRC2:TIDIG_COMP_CNT: 0
	.section	.text._Z19shuffle_down_kernelILj377ELj128ElEvPT1_S1_,"axG",@progbits,_Z19shuffle_down_kernelILj377ELj128ElEvPT1_S1_,comdat
	.protected	_Z19shuffle_down_kernelILj377ELj128ElEvPT1_S1_ ; -- Begin function _Z19shuffle_down_kernelILj377ELj128ElEvPT1_S1_
	.globl	_Z19shuffle_down_kernelILj377ELj128ElEvPT1_S1_
	.p2align	8
	.type	_Z19shuffle_down_kernelILj377ELj128ElEvPT1_S1_,@function
_Z19shuffle_down_kernelILj377ELj128ElEvPT1_S1_: ; @_Z19shuffle_down_kernelILj377ELj128ElEvPT1_S1_
; %bb.0:
	s_load_dwordx4 s[0:3], s[4:5], 0x0
	s_mulk_i32 s6, 0x179
	v_add_lshl_u32 v1, s6, v0, 7
	v_mov_b32_e32 v2, 0
	v_lshlrev_b64 v[5:6], 3, v[1:2]
	s_waitcnt lgkmcnt(0)
	v_mov_b32_e32 v1, s1
	v_add_co_u32_e32 v7, vcc, s0, v5
	v_addc_co_u32_e32 v8, vcc, v1, v6, vcc
	global_load_dwordx4 v[1:4], v[7:8], off
	v_mov_b32_e32 v9, s3
	v_add_co_u32_e32 v5, vcc, s2, v5
	v_addc_co_u32_e32 v6, vcc, v9, v6, vcc
	s_movk_i32 s0, 0x178
	v_cmp_gt_u32_e32 vcc, s0, v0
	s_waitcnt vmcnt(0)
	global_store_dwordx2 v[5:6], v[3:4], off
	global_load_dwordx2 v[3:4], v[7:8], off offset:16
	s_waitcnt vmcnt(0)
	global_store_dwordx2 v[5:6], v[3:4], off offset:8
	global_load_dwordx2 v[3:4], v[7:8], off offset:24
	s_waitcnt vmcnt(0)
	global_store_dwordx2 v[5:6], v[3:4], off offset:16
	;; [unrolled: 3-line block ×125, first 2 shown]
	global_load_dwordx2 v[7:8], v[7:8], off offset:1016
	v_lshlrev_b32_e32 v3, 3, v0
	ds_write_b64 v3, v[1:2]
	s_waitcnt vmcnt(0)
	global_store_dwordx2 v[5:6], v[7:8], off offset:1008
	s_waitcnt vmcnt(0) lgkmcnt(0)
	s_barrier
	s_and_saveexec_b64 s[0:1], vcc
	s_cbranch_execz .LBB54_2
; %bb.1:
	ds_read_b64 v[0:1], v3 offset:8
	s_waitcnt lgkmcnt(0)
	global_store_dwordx2 v[5:6], v[0:1], off offset:1016
.LBB54_2:
	s_endpgm
	.section	.rodata,"a",@progbits
	.p2align	6, 0x0
	.amdhsa_kernel _Z19shuffle_down_kernelILj377ELj128ElEvPT1_S1_
		.amdhsa_group_segment_fixed_size 3016
		.amdhsa_private_segment_fixed_size 0
		.amdhsa_kernarg_size 16
		.amdhsa_user_sgpr_count 6
		.amdhsa_user_sgpr_private_segment_buffer 1
		.amdhsa_user_sgpr_dispatch_ptr 0
		.amdhsa_user_sgpr_queue_ptr 0
		.amdhsa_user_sgpr_kernarg_segment_ptr 1
		.amdhsa_user_sgpr_dispatch_id 0
		.amdhsa_user_sgpr_flat_scratch_init 0
		.amdhsa_user_sgpr_private_segment_size 0
		.amdhsa_uses_dynamic_stack 0
		.amdhsa_system_sgpr_private_segment_wavefront_offset 0
		.amdhsa_system_sgpr_workgroup_id_x 1
		.amdhsa_system_sgpr_workgroup_id_y 0
		.amdhsa_system_sgpr_workgroup_id_z 0
		.amdhsa_system_sgpr_workgroup_info 0
		.amdhsa_system_vgpr_workitem_id 0
		.amdhsa_next_free_vgpr 25
		.amdhsa_next_free_sgpr 61
		.amdhsa_reserve_vcc 1
		.amdhsa_reserve_flat_scratch 0
		.amdhsa_float_round_mode_32 0
		.amdhsa_float_round_mode_16_64 0
		.amdhsa_float_denorm_mode_32 3
		.amdhsa_float_denorm_mode_16_64 3
		.amdhsa_dx10_clamp 1
		.amdhsa_ieee_mode 1
		.amdhsa_fp16_overflow 0
		.amdhsa_exception_fp_ieee_invalid_op 0
		.amdhsa_exception_fp_denorm_src 0
		.amdhsa_exception_fp_ieee_div_zero 0
		.amdhsa_exception_fp_ieee_overflow 0
		.amdhsa_exception_fp_ieee_underflow 0
		.amdhsa_exception_fp_ieee_inexact 0
		.amdhsa_exception_int_div_zero 0
	.end_amdhsa_kernel
	.section	.text._Z19shuffle_down_kernelILj377ELj128ElEvPT1_S1_,"axG",@progbits,_Z19shuffle_down_kernelILj377ELj128ElEvPT1_S1_,comdat
.Lfunc_end54:
	.size	_Z19shuffle_down_kernelILj377ELj128ElEvPT1_S1_, .Lfunc_end54-_Z19shuffle_down_kernelILj377ELj128ElEvPT1_S1_
                                        ; -- End function
	.set _Z19shuffle_down_kernelILj377ELj128ElEvPT1_S1_.num_vgpr, 10
	.set _Z19shuffle_down_kernelILj377ELj128ElEvPT1_S1_.num_agpr, 0
	.set _Z19shuffle_down_kernelILj377ELj128ElEvPT1_S1_.numbered_sgpr, 7
	.set _Z19shuffle_down_kernelILj377ELj128ElEvPT1_S1_.num_named_barrier, 0
	.set _Z19shuffle_down_kernelILj377ELj128ElEvPT1_S1_.private_seg_size, 0
	.set _Z19shuffle_down_kernelILj377ELj128ElEvPT1_S1_.uses_vcc, 1
	.set _Z19shuffle_down_kernelILj377ELj128ElEvPT1_S1_.uses_flat_scratch, 0
	.set _Z19shuffle_down_kernelILj377ELj128ElEvPT1_S1_.has_dyn_sized_stack, 0
	.set _Z19shuffle_down_kernelILj377ELj128ElEvPT1_S1_.has_recursion, 0
	.set _Z19shuffle_down_kernelILj377ELj128ElEvPT1_S1_.has_indirect_call, 0
	.section	.AMDGPU.csdata,"",@progbits
; Kernel info:
; codeLenInByte = 2660
; TotalNumSgprs: 11
; NumVgprs: 10
; ScratchSize: 0
; MemoryBound: 1
; FloatMode: 240
; IeeeMode: 1
; LDSByteSize: 3016 bytes/workgroup (compile time only)
; SGPRBlocks: 8
; VGPRBlocks: 6
; NumSGPRsForWavesPerEU: 65
; NumVGPRsForWavesPerEU: 25
; Occupancy: 9
; WaveLimiterHint : 1
; COMPUTE_PGM_RSRC2:SCRATCH_EN: 0
; COMPUTE_PGM_RSRC2:USER_SGPR: 6
; COMPUTE_PGM_RSRC2:TRAP_HANDLER: 0
; COMPUTE_PGM_RSRC2:TGID_X_EN: 1
; COMPUTE_PGM_RSRC2:TGID_Y_EN: 0
; COMPUTE_PGM_RSRC2:TGID_Z_EN: 0
; COMPUTE_PGM_RSRC2:TIDIG_COMP_CNT: 0
	.section	.text._Z19shuffle_down_kernelILj256ELj128ElEvPT1_S1_,"axG",@progbits,_Z19shuffle_down_kernelILj256ELj128ElEvPT1_S1_,comdat
	.protected	_Z19shuffle_down_kernelILj256ELj128ElEvPT1_S1_ ; -- Begin function _Z19shuffle_down_kernelILj256ELj128ElEvPT1_S1_
	.globl	_Z19shuffle_down_kernelILj256ELj128ElEvPT1_S1_
	.p2align	8
	.type	_Z19shuffle_down_kernelILj256ELj128ElEvPT1_S1_,@function
_Z19shuffle_down_kernelILj256ELj128ElEvPT1_S1_: ; @_Z19shuffle_down_kernelILj256ELj128ElEvPT1_S1_
; %bb.0:
	s_load_dwordx4 s[0:3], s[4:5], 0x0
	v_lshlrev_b32_e32 v1, 7, v0
	v_lshl_or_b32 v1, s6, 15, v1
	v_mov_b32_e32 v2, 0
	v_lshlrev_b64 v[1:2], 3, v[1:2]
	s_waitcnt lgkmcnt(0)
	v_mov_b32_e32 v3, s1
	v_add_co_u32_e32 v8, vcc, s0, v1
	v_addc_co_u32_e32 v9, vcc, v3, v2, vcc
	global_load_dwordx4 v[4:7], v[8:9], off
	v_mov_b32_e32 v3, s3
	v_add_co_u32_e32 v1, vcc, s2, v1
	v_addc_co_u32_e32 v2, vcc, v3, v2, vcc
	s_movk_i32 s0, 0xff
	v_lshlrev_b32_e32 v3, 3, v0
	v_cmp_gt_u32_e32 vcc, s0, v0
	s_waitcnt vmcnt(0)
	global_store_dwordx2 v[1:2], v[6:7], off
	global_load_dwordx2 v[6:7], v[8:9], off offset:16
	ds_write_b64 v3, v[4:5]
	s_waitcnt vmcnt(0)
	global_store_dwordx2 v[1:2], v[6:7], off offset:8
	global_load_dwordx2 v[6:7], v[8:9], off offset:24
	s_waitcnt vmcnt(0)
	global_store_dwordx2 v[1:2], v[6:7], off offset:16
	global_load_dwordx2 v[6:7], v[8:9], off offset:32
	;; [unrolled: 3-line block ×125, first 2 shown]
	s_waitcnt vmcnt(0)
	global_store_dwordx2 v[1:2], v[6:7], off offset:1008
	s_waitcnt vmcnt(0) lgkmcnt(0)
	s_barrier
	s_and_saveexec_b64 s[0:1], vcc
	s_cbranch_execz .LBB55_2
; %bb.1:
	ds_read_b64 v[3:4], v3 offset:8
	s_waitcnt lgkmcnt(0)
	global_store_dwordx2 v[1:2], v[3:4], off offset:1016
.LBB55_2:
	s_endpgm
	.section	.rodata,"a",@progbits
	.p2align	6, 0x0
	.amdhsa_kernel _Z19shuffle_down_kernelILj256ELj128ElEvPT1_S1_
		.amdhsa_group_segment_fixed_size 2048
		.amdhsa_private_segment_fixed_size 0
		.amdhsa_kernarg_size 16
		.amdhsa_user_sgpr_count 6
		.amdhsa_user_sgpr_private_segment_buffer 1
		.amdhsa_user_sgpr_dispatch_ptr 0
		.amdhsa_user_sgpr_queue_ptr 0
		.amdhsa_user_sgpr_kernarg_segment_ptr 1
		.amdhsa_user_sgpr_dispatch_id 0
		.amdhsa_user_sgpr_flat_scratch_init 0
		.amdhsa_user_sgpr_private_segment_size 0
		.amdhsa_uses_dynamic_stack 0
		.amdhsa_system_sgpr_private_segment_wavefront_offset 0
		.amdhsa_system_sgpr_workgroup_id_x 1
		.amdhsa_system_sgpr_workgroup_id_y 0
		.amdhsa_system_sgpr_workgroup_id_z 0
		.amdhsa_system_sgpr_workgroup_info 0
		.amdhsa_system_vgpr_workitem_id 0
		.amdhsa_next_free_vgpr 10
		.amdhsa_next_free_sgpr 7
		.amdhsa_reserve_vcc 1
		.amdhsa_reserve_flat_scratch 0
		.amdhsa_float_round_mode_32 0
		.amdhsa_float_round_mode_16_64 0
		.amdhsa_float_denorm_mode_32 3
		.amdhsa_float_denorm_mode_16_64 3
		.amdhsa_dx10_clamp 1
		.amdhsa_ieee_mode 1
		.amdhsa_fp16_overflow 0
		.amdhsa_exception_fp_ieee_invalid_op 0
		.amdhsa_exception_fp_denorm_src 0
		.amdhsa_exception_fp_ieee_div_zero 0
		.amdhsa_exception_fp_ieee_overflow 0
		.amdhsa_exception_fp_ieee_underflow 0
		.amdhsa_exception_fp_ieee_inexact 0
		.amdhsa_exception_int_div_zero 0
	.end_amdhsa_kernel
	.section	.text._Z19shuffle_down_kernelILj256ELj128ElEvPT1_S1_,"axG",@progbits,_Z19shuffle_down_kernelILj256ELj128ElEvPT1_S1_,comdat
.Lfunc_end55:
	.size	_Z19shuffle_down_kernelILj256ELj128ElEvPT1_S1_, .Lfunc_end55-_Z19shuffle_down_kernelILj256ELj128ElEvPT1_S1_
                                        ; -- End function
	.set _Z19shuffle_down_kernelILj256ELj128ElEvPT1_S1_.num_vgpr, 10
	.set _Z19shuffle_down_kernelILj256ELj128ElEvPT1_S1_.num_agpr, 0
	.set _Z19shuffle_down_kernelILj256ELj128ElEvPT1_S1_.numbered_sgpr, 7
	.set _Z19shuffle_down_kernelILj256ELj128ElEvPT1_S1_.num_named_barrier, 0
	.set _Z19shuffle_down_kernelILj256ELj128ElEvPT1_S1_.private_seg_size, 0
	.set _Z19shuffle_down_kernelILj256ELj128ElEvPT1_S1_.uses_vcc, 1
	.set _Z19shuffle_down_kernelILj256ELj128ElEvPT1_S1_.uses_flat_scratch, 0
	.set _Z19shuffle_down_kernelILj256ELj128ElEvPT1_S1_.has_dyn_sized_stack, 0
	.set _Z19shuffle_down_kernelILj256ELj128ElEvPT1_S1_.has_recursion, 0
	.set _Z19shuffle_down_kernelILj256ELj128ElEvPT1_S1_.has_indirect_call, 0
	.section	.AMDGPU.csdata,"",@progbits
; Kernel info:
; codeLenInByte = 2660
; TotalNumSgprs: 11
; NumVgprs: 10
; ScratchSize: 0
; MemoryBound: 1
; FloatMode: 240
; IeeeMode: 1
; LDSByteSize: 2048 bytes/workgroup (compile time only)
; SGPRBlocks: 1
; VGPRBlocks: 2
; NumSGPRsForWavesPerEU: 11
; NumVGPRsForWavesPerEU: 10
; Occupancy: 10
; WaveLimiterHint : 1
; COMPUTE_PGM_RSRC2:SCRATCH_EN: 0
; COMPUTE_PGM_RSRC2:USER_SGPR: 6
; COMPUTE_PGM_RSRC2:TRAP_HANDLER: 0
; COMPUTE_PGM_RSRC2:TGID_X_EN: 1
; COMPUTE_PGM_RSRC2:TGID_Y_EN: 0
; COMPUTE_PGM_RSRC2:TGID_Z_EN: 0
; COMPUTE_PGM_RSRC2:TIDIG_COMP_CNT: 0
	.section	.text._Z19shuffle_down_kernelILj64ELj128ElEvPT1_S1_,"axG",@progbits,_Z19shuffle_down_kernelILj64ELj128ElEvPT1_S1_,comdat
	.protected	_Z19shuffle_down_kernelILj64ELj128ElEvPT1_S1_ ; -- Begin function _Z19shuffle_down_kernelILj64ELj128ElEvPT1_S1_
	.globl	_Z19shuffle_down_kernelILj64ELj128ElEvPT1_S1_
	.p2align	8
	.type	_Z19shuffle_down_kernelILj64ELj128ElEvPT1_S1_,@function
_Z19shuffle_down_kernelILj64ELj128ElEvPT1_S1_: ; @_Z19shuffle_down_kernelILj64ELj128ElEvPT1_S1_
; %bb.0:
	s_load_dwordx4 s[0:3], s[4:5], 0x0
	v_lshlrev_b32_e32 v1, 7, v0
	v_lshl_or_b32 v1, s6, 13, v1
	v_mov_b32_e32 v2, 0
	v_lshlrev_b64 v[1:2], 3, v[1:2]
	s_waitcnt lgkmcnt(0)
	v_mov_b32_e32 v3, s1
	v_add_co_u32_e32 v8, vcc, s0, v1
	v_addc_co_u32_e32 v9, vcc, v3, v2, vcc
	global_load_dwordx4 v[4:7], v[8:9], off
	v_mov_b32_e32 v3, s3
	v_add_co_u32_e32 v1, vcc, s2, v1
	v_addc_co_u32_e32 v2, vcc, v3, v2, vcc
	v_lshlrev_b32_e32 v3, 3, v0
	v_cmp_gt_u32_e32 vcc, 63, v0
	s_waitcnt vmcnt(0)
	global_store_dwordx2 v[1:2], v[6:7], off
	global_load_dwordx2 v[6:7], v[8:9], off offset:16
	ds_write_b64 v3, v[4:5]
	s_waitcnt vmcnt(0)
	global_store_dwordx2 v[1:2], v[6:7], off offset:8
	global_load_dwordx2 v[6:7], v[8:9], off offset:24
	s_waitcnt vmcnt(0)
	global_store_dwordx2 v[1:2], v[6:7], off offset:16
	global_load_dwordx2 v[6:7], v[8:9], off offset:32
	;; [unrolled: 3-line block ×125, first 2 shown]
	s_waitcnt vmcnt(0)
	global_store_dwordx2 v[1:2], v[6:7], off offset:1008
	s_waitcnt lgkmcnt(0)
	; wave barrier
	s_and_saveexec_b64 s[0:1], vcc
	s_cbranch_execz .LBB56_2
; %bb.1:
	ds_read_b64 v[3:4], v3 offset:8
	s_waitcnt lgkmcnt(0)
	global_store_dwordx2 v[1:2], v[3:4], off offset:1016
.LBB56_2:
	s_endpgm
	.section	.rodata,"a",@progbits
	.p2align	6, 0x0
	.amdhsa_kernel _Z19shuffle_down_kernelILj64ELj128ElEvPT1_S1_
		.amdhsa_group_segment_fixed_size 512
		.amdhsa_private_segment_fixed_size 0
		.amdhsa_kernarg_size 16
		.amdhsa_user_sgpr_count 6
		.amdhsa_user_sgpr_private_segment_buffer 1
		.amdhsa_user_sgpr_dispatch_ptr 0
		.amdhsa_user_sgpr_queue_ptr 0
		.amdhsa_user_sgpr_kernarg_segment_ptr 1
		.amdhsa_user_sgpr_dispatch_id 0
		.amdhsa_user_sgpr_flat_scratch_init 0
		.amdhsa_user_sgpr_private_segment_size 0
		.amdhsa_uses_dynamic_stack 0
		.amdhsa_system_sgpr_private_segment_wavefront_offset 0
		.amdhsa_system_sgpr_workgroup_id_x 1
		.amdhsa_system_sgpr_workgroup_id_y 0
		.amdhsa_system_sgpr_workgroup_id_z 0
		.amdhsa_system_sgpr_workgroup_info 0
		.amdhsa_system_vgpr_workitem_id 0
		.amdhsa_next_free_vgpr 10
		.amdhsa_next_free_sgpr 7
		.amdhsa_reserve_vcc 1
		.amdhsa_reserve_flat_scratch 0
		.amdhsa_float_round_mode_32 0
		.amdhsa_float_round_mode_16_64 0
		.amdhsa_float_denorm_mode_32 3
		.amdhsa_float_denorm_mode_16_64 3
		.amdhsa_dx10_clamp 1
		.amdhsa_ieee_mode 1
		.amdhsa_fp16_overflow 0
		.amdhsa_exception_fp_ieee_invalid_op 0
		.amdhsa_exception_fp_denorm_src 0
		.amdhsa_exception_fp_ieee_div_zero 0
		.amdhsa_exception_fp_ieee_overflow 0
		.amdhsa_exception_fp_ieee_underflow 0
		.amdhsa_exception_fp_ieee_inexact 0
		.amdhsa_exception_int_div_zero 0
	.end_amdhsa_kernel
	.section	.text._Z19shuffle_down_kernelILj64ELj128ElEvPT1_S1_,"axG",@progbits,_Z19shuffle_down_kernelILj64ELj128ElEvPT1_S1_,comdat
.Lfunc_end56:
	.size	_Z19shuffle_down_kernelILj64ELj128ElEvPT1_S1_, .Lfunc_end56-_Z19shuffle_down_kernelILj64ELj128ElEvPT1_S1_
                                        ; -- End function
	.set _Z19shuffle_down_kernelILj64ELj128ElEvPT1_S1_.num_vgpr, 10
	.set _Z19shuffle_down_kernelILj64ELj128ElEvPT1_S1_.num_agpr, 0
	.set _Z19shuffle_down_kernelILj64ELj128ElEvPT1_S1_.numbered_sgpr, 7
	.set _Z19shuffle_down_kernelILj64ELj128ElEvPT1_S1_.num_named_barrier, 0
	.set _Z19shuffle_down_kernelILj64ELj128ElEvPT1_S1_.private_seg_size, 0
	.set _Z19shuffle_down_kernelILj64ELj128ElEvPT1_S1_.uses_vcc, 1
	.set _Z19shuffle_down_kernelILj64ELj128ElEvPT1_S1_.uses_flat_scratch, 0
	.set _Z19shuffle_down_kernelILj64ELj128ElEvPT1_S1_.has_dyn_sized_stack, 0
	.set _Z19shuffle_down_kernelILj64ELj128ElEvPT1_S1_.has_recursion, 0
	.set _Z19shuffle_down_kernelILj64ELj128ElEvPT1_S1_.has_indirect_call, 0
	.section	.AMDGPU.csdata,"",@progbits
; Kernel info:
; codeLenInByte = 2652
; TotalNumSgprs: 11
; NumVgprs: 10
; ScratchSize: 0
; MemoryBound: 1
; FloatMode: 240
; IeeeMode: 1
; LDSByteSize: 512 bytes/workgroup (compile time only)
; SGPRBlocks: 1
; VGPRBlocks: 2
; NumSGPRsForWavesPerEU: 11
; NumVGPRsForWavesPerEU: 10
; Occupancy: 10
; WaveLimiterHint : 1
; COMPUTE_PGM_RSRC2:SCRATCH_EN: 0
; COMPUTE_PGM_RSRC2:USER_SGPR: 6
; COMPUTE_PGM_RSRC2:TRAP_HANDLER: 0
; COMPUTE_PGM_RSRC2:TGID_X_EN: 1
; COMPUTE_PGM_RSRC2:TGID_Y_EN: 0
; COMPUTE_PGM_RSRC2:TGID_Z_EN: 0
; COMPUTE_PGM_RSRC2:TIDIG_COMP_CNT: 0
	.section	.text._Z19shuffle_down_kernelILj377ELj128EjEvPT1_S1_,"axG",@progbits,_Z19shuffle_down_kernelILj377ELj128EjEvPT1_S1_,comdat
	.protected	_Z19shuffle_down_kernelILj377ELj128EjEvPT1_S1_ ; -- Begin function _Z19shuffle_down_kernelILj377ELj128EjEvPT1_S1_
	.globl	_Z19shuffle_down_kernelILj377ELj128EjEvPT1_S1_
	.p2align	8
	.type	_Z19shuffle_down_kernelILj377ELj128EjEvPT1_S1_,@function
_Z19shuffle_down_kernelILj377ELj128EjEvPT1_S1_: ; @_Z19shuffle_down_kernelILj377ELj128EjEvPT1_S1_
; %bb.0:
	s_load_dwordx4 s[0:3], s[4:5], 0x0
	s_mulk_i32 s6, 0x179
	v_add_lshl_u32 v1, s6, v0, 7
	v_mov_b32_e32 v2, 0
	v_lshlrev_b64 v[1:2], 2, v[1:2]
	s_waitcnt lgkmcnt(0)
	v_mov_b32_e32 v4, s1
	v_add_co_u32_e32 v3, vcc, s0, v1
	v_addc_co_u32_e32 v4, vcc, v4, v2, vcc
	global_load_dwordx2 v[5:6], v[3:4], off
	v_mov_b32_e32 v7, s3
	v_add_co_u32_e32 v1, vcc, s2, v1
	v_addc_co_u32_e32 v2, vcc, v7, v2, vcc
	s_movk_i32 s0, 0x178
	v_cmp_gt_u32_e32 vcc, s0, v0
	s_waitcnt vmcnt(0)
	global_store_dword v[1:2], v6, off
	global_load_dword v6, v[3:4], off offset:8
	s_waitcnt vmcnt(0)
	global_store_dword v[1:2], v6, off offset:4
	global_load_dword v6, v[3:4], off offset:12
	s_waitcnt vmcnt(0)
	global_store_dword v[1:2], v6, off offset:8
	;; [unrolled: 3-line block ×125, first 2 shown]
	global_load_dword v4, v[3:4], off offset:508
	v_lshlrev_b32_e32 v3, 2, v0
	ds_write_b32 v3, v5
	s_waitcnt vmcnt(0)
	global_store_dword v[1:2], v4, off offset:504
	s_waitcnt vmcnt(0) lgkmcnt(0)
	s_barrier
	s_and_saveexec_b64 s[0:1], vcc
	s_cbranch_execz .LBB57_2
; %bb.1:
	ds_read_b32 v0, v3 offset:4
	s_waitcnt lgkmcnt(0)
	global_store_dword v[1:2], v0, off offset:508
.LBB57_2:
	s_endpgm
	.section	.rodata,"a",@progbits
	.p2align	6, 0x0
	.amdhsa_kernel _Z19shuffle_down_kernelILj377ELj128EjEvPT1_S1_
		.amdhsa_group_segment_fixed_size 1508
		.amdhsa_private_segment_fixed_size 0
		.amdhsa_kernarg_size 16
		.amdhsa_user_sgpr_count 6
		.amdhsa_user_sgpr_private_segment_buffer 1
		.amdhsa_user_sgpr_dispatch_ptr 0
		.amdhsa_user_sgpr_queue_ptr 0
		.amdhsa_user_sgpr_kernarg_segment_ptr 1
		.amdhsa_user_sgpr_dispatch_id 0
		.amdhsa_user_sgpr_flat_scratch_init 0
		.amdhsa_user_sgpr_private_segment_size 0
		.amdhsa_uses_dynamic_stack 0
		.amdhsa_system_sgpr_private_segment_wavefront_offset 0
		.amdhsa_system_sgpr_workgroup_id_x 1
		.amdhsa_system_sgpr_workgroup_id_y 0
		.amdhsa_system_sgpr_workgroup_id_z 0
		.amdhsa_system_sgpr_workgroup_info 0
		.amdhsa_system_vgpr_workitem_id 0
		.amdhsa_next_free_vgpr 8
		.amdhsa_next_free_sgpr 7
		.amdhsa_reserve_vcc 1
		.amdhsa_reserve_flat_scratch 0
		.amdhsa_float_round_mode_32 0
		.amdhsa_float_round_mode_16_64 0
		.amdhsa_float_denorm_mode_32 3
		.amdhsa_float_denorm_mode_16_64 3
		.amdhsa_dx10_clamp 1
		.amdhsa_ieee_mode 1
		.amdhsa_fp16_overflow 0
		.amdhsa_exception_fp_ieee_invalid_op 0
		.amdhsa_exception_fp_denorm_src 0
		.amdhsa_exception_fp_ieee_div_zero 0
		.amdhsa_exception_fp_ieee_overflow 0
		.amdhsa_exception_fp_ieee_underflow 0
		.amdhsa_exception_fp_ieee_inexact 0
		.amdhsa_exception_int_div_zero 0
	.end_amdhsa_kernel
	.section	.text._Z19shuffle_down_kernelILj377ELj128EjEvPT1_S1_,"axG",@progbits,_Z19shuffle_down_kernelILj377ELj128EjEvPT1_S1_,comdat
.Lfunc_end57:
	.size	_Z19shuffle_down_kernelILj377ELj128EjEvPT1_S1_, .Lfunc_end57-_Z19shuffle_down_kernelILj377ELj128EjEvPT1_S1_
                                        ; -- End function
	.set _Z19shuffle_down_kernelILj377ELj128EjEvPT1_S1_.num_vgpr, 8
	.set _Z19shuffle_down_kernelILj377ELj128EjEvPT1_S1_.num_agpr, 0
	.set _Z19shuffle_down_kernelILj377ELj128EjEvPT1_S1_.numbered_sgpr, 7
	.set _Z19shuffle_down_kernelILj377ELj128EjEvPT1_S1_.num_named_barrier, 0
	.set _Z19shuffle_down_kernelILj377ELj128EjEvPT1_S1_.private_seg_size, 0
	.set _Z19shuffle_down_kernelILj377ELj128EjEvPT1_S1_.uses_vcc, 1
	.set _Z19shuffle_down_kernelILj377ELj128EjEvPT1_S1_.uses_flat_scratch, 0
	.set _Z19shuffle_down_kernelILj377ELj128EjEvPT1_S1_.has_dyn_sized_stack, 0
	.set _Z19shuffle_down_kernelILj377ELj128EjEvPT1_S1_.has_recursion, 0
	.set _Z19shuffle_down_kernelILj377ELj128EjEvPT1_S1_.has_indirect_call, 0
	.section	.AMDGPU.csdata,"",@progbits
; Kernel info:
; codeLenInByte = 2660
; TotalNumSgprs: 11
; NumVgprs: 8
; ScratchSize: 0
; MemoryBound: 1
; FloatMode: 240
; IeeeMode: 1
; LDSByteSize: 1508 bytes/workgroup (compile time only)
; SGPRBlocks: 1
; VGPRBlocks: 1
; NumSGPRsForWavesPerEU: 11
; NumVGPRsForWavesPerEU: 8
; Occupancy: 10
; WaveLimiterHint : 1
; COMPUTE_PGM_RSRC2:SCRATCH_EN: 0
; COMPUTE_PGM_RSRC2:USER_SGPR: 6
; COMPUTE_PGM_RSRC2:TRAP_HANDLER: 0
; COMPUTE_PGM_RSRC2:TGID_X_EN: 1
; COMPUTE_PGM_RSRC2:TGID_Y_EN: 0
; COMPUTE_PGM_RSRC2:TGID_Z_EN: 0
; COMPUTE_PGM_RSRC2:TIDIG_COMP_CNT: 0
	.section	.text._Z19shuffle_down_kernelILj256ELj128EjEvPT1_S1_,"axG",@progbits,_Z19shuffle_down_kernelILj256ELj128EjEvPT1_S1_,comdat
	.protected	_Z19shuffle_down_kernelILj256ELj128EjEvPT1_S1_ ; -- Begin function _Z19shuffle_down_kernelILj256ELj128EjEvPT1_S1_
	.globl	_Z19shuffle_down_kernelILj256ELj128EjEvPT1_S1_
	.p2align	8
	.type	_Z19shuffle_down_kernelILj256ELj128EjEvPT1_S1_,@function
_Z19shuffle_down_kernelILj256ELj128EjEvPT1_S1_: ; @_Z19shuffle_down_kernelILj256ELj128EjEvPT1_S1_
; %bb.0:
	s_load_dwordx4 s[0:3], s[4:5], 0x0
	v_lshlrev_b32_e32 v1, 7, v0
	v_lshl_or_b32 v1, s6, 15, v1
	v_mov_b32_e32 v2, 0
	v_lshlrev_b64 v[1:2], 2, v[1:2]
	s_waitcnt lgkmcnt(0)
	v_mov_b32_e32 v4, s1
	v_add_co_u32_e32 v3, vcc, s0, v1
	v_addc_co_u32_e32 v4, vcc, v4, v2, vcc
	global_load_dwordx2 v[5:6], v[3:4], off
	v_mov_b32_e32 v7, s3
	v_add_co_u32_e32 v1, vcc, s2, v1
	v_addc_co_u32_e32 v2, vcc, v7, v2, vcc
	s_movk_i32 s0, 0xff
	v_cmp_gt_u32_e32 vcc, s0, v0
	s_waitcnt vmcnt(0)
	global_store_dword v[1:2], v6, off
	global_load_dword v6, v[3:4], off offset:8
	s_waitcnt vmcnt(0)
	global_store_dword v[1:2], v6, off offset:4
	global_load_dword v6, v[3:4], off offset:12
	s_waitcnt vmcnt(0)
	global_store_dword v[1:2], v6, off offset:8
	;; [unrolled: 3-line block ×125, first 2 shown]
	global_load_dword v4, v[3:4], off offset:508
	v_lshlrev_b32_e32 v3, 2, v0
	ds_write_b32 v3, v5
	s_waitcnt vmcnt(0)
	global_store_dword v[1:2], v4, off offset:504
	s_waitcnt vmcnt(0) lgkmcnt(0)
	s_barrier
	s_and_saveexec_b64 s[0:1], vcc
	s_cbranch_execz .LBB58_2
; %bb.1:
	ds_read_b32 v0, v3 offset:4
	s_waitcnt lgkmcnt(0)
	global_store_dword v[1:2], v0, off offset:508
.LBB58_2:
	s_endpgm
	.section	.rodata,"a",@progbits
	.p2align	6, 0x0
	.amdhsa_kernel _Z19shuffle_down_kernelILj256ELj128EjEvPT1_S1_
		.amdhsa_group_segment_fixed_size 1024
		.amdhsa_private_segment_fixed_size 0
		.amdhsa_kernarg_size 16
		.amdhsa_user_sgpr_count 6
		.amdhsa_user_sgpr_private_segment_buffer 1
		.amdhsa_user_sgpr_dispatch_ptr 0
		.amdhsa_user_sgpr_queue_ptr 0
		.amdhsa_user_sgpr_kernarg_segment_ptr 1
		.amdhsa_user_sgpr_dispatch_id 0
		.amdhsa_user_sgpr_flat_scratch_init 0
		.amdhsa_user_sgpr_private_segment_size 0
		.amdhsa_uses_dynamic_stack 0
		.amdhsa_system_sgpr_private_segment_wavefront_offset 0
		.amdhsa_system_sgpr_workgroup_id_x 1
		.amdhsa_system_sgpr_workgroup_id_y 0
		.amdhsa_system_sgpr_workgroup_id_z 0
		.amdhsa_system_sgpr_workgroup_info 0
		.amdhsa_system_vgpr_workitem_id 0
		.amdhsa_next_free_vgpr 8
		.amdhsa_next_free_sgpr 7
		.amdhsa_reserve_vcc 1
		.amdhsa_reserve_flat_scratch 0
		.amdhsa_float_round_mode_32 0
		.amdhsa_float_round_mode_16_64 0
		.amdhsa_float_denorm_mode_32 3
		.amdhsa_float_denorm_mode_16_64 3
		.amdhsa_dx10_clamp 1
		.amdhsa_ieee_mode 1
		.amdhsa_fp16_overflow 0
		.amdhsa_exception_fp_ieee_invalid_op 0
		.amdhsa_exception_fp_denorm_src 0
		.amdhsa_exception_fp_ieee_div_zero 0
		.amdhsa_exception_fp_ieee_overflow 0
		.amdhsa_exception_fp_ieee_underflow 0
		.amdhsa_exception_fp_ieee_inexact 0
		.amdhsa_exception_int_div_zero 0
	.end_amdhsa_kernel
	.section	.text._Z19shuffle_down_kernelILj256ELj128EjEvPT1_S1_,"axG",@progbits,_Z19shuffle_down_kernelILj256ELj128EjEvPT1_S1_,comdat
.Lfunc_end58:
	.size	_Z19shuffle_down_kernelILj256ELj128EjEvPT1_S1_, .Lfunc_end58-_Z19shuffle_down_kernelILj256ELj128EjEvPT1_S1_
                                        ; -- End function
	.set _Z19shuffle_down_kernelILj256ELj128EjEvPT1_S1_.num_vgpr, 8
	.set _Z19shuffle_down_kernelILj256ELj128EjEvPT1_S1_.num_agpr, 0
	.set _Z19shuffle_down_kernelILj256ELj128EjEvPT1_S1_.numbered_sgpr, 7
	.set _Z19shuffle_down_kernelILj256ELj128EjEvPT1_S1_.num_named_barrier, 0
	.set _Z19shuffle_down_kernelILj256ELj128EjEvPT1_S1_.private_seg_size, 0
	.set _Z19shuffle_down_kernelILj256ELj128EjEvPT1_S1_.uses_vcc, 1
	.set _Z19shuffle_down_kernelILj256ELj128EjEvPT1_S1_.uses_flat_scratch, 0
	.set _Z19shuffle_down_kernelILj256ELj128EjEvPT1_S1_.has_dyn_sized_stack, 0
	.set _Z19shuffle_down_kernelILj256ELj128EjEvPT1_S1_.has_recursion, 0
	.set _Z19shuffle_down_kernelILj256ELj128EjEvPT1_S1_.has_indirect_call, 0
	.section	.AMDGPU.csdata,"",@progbits
; Kernel info:
; codeLenInByte = 2660
; TotalNumSgprs: 11
; NumVgprs: 8
; ScratchSize: 0
; MemoryBound: 1
; FloatMode: 240
; IeeeMode: 1
; LDSByteSize: 1024 bytes/workgroup (compile time only)
; SGPRBlocks: 1
; VGPRBlocks: 1
; NumSGPRsForWavesPerEU: 11
; NumVGPRsForWavesPerEU: 8
; Occupancy: 10
; WaveLimiterHint : 1
; COMPUTE_PGM_RSRC2:SCRATCH_EN: 0
; COMPUTE_PGM_RSRC2:USER_SGPR: 6
; COMPUTE_PGM_RSRC2:TRAP_HANDLER: 0
; COMPUTE_PGM_RSRC2:TGID_X_EN: 1
; COMPUTE_PGM_RSRC2:TGID_Y_EN: 0
; COMPUTE_PGM_RSRC2:TGID_Z_EN: 0
; COMPUTE_PGM_RSRC2:TIDIG_COMP_CNT: 0
	.section	.text._Z19shuffle_down_kernelILj64ELj128EjEvPT1_S1_,"axG",@progbits,_Z19shuffle_down_kernelILj64ELj128EjEvPT1_S1_,comdat
	.protected	_Z19shuffle_down_kernelILj64ELj128EjEvPT1_S1_ ; -- Begin function _Z19shuffle_down_kernelILj64ELj128EjEvPT1_S1_
	.globl	_Z19shuffle_down_kernelILj64ELj128EjEvPT1_S1_
	.p2align	8
	.type	_Z19shuffle_down_kernelILj64ELj128EjEvPT1_S1_,@function
_Z19shuffle_down_kernelILj64ELj128EjEvPT1_S1_: ; @_Z19shuffle_down_kernelILj64ELj128EjEvPT1_S1_
; %bb.0:
	s_load_dwordx4 s[0:3], s[4:5], 0x0
	v_lshlrev_b32_e32 v1, 7, v0
	v_lshl_or_b32 v1, s6, 13, v1
	v_mov_b32_e32 v2, 0
	v_lshlrev_b64 v[1:2], 2, v[1:2]
	s_waitcnt lgkmcnt(0)
	v_mov_b32_e32 v4, s1
	v_add_co_u32_e32 v3, vcc, s0, v1
	v_addc_co_u32_e32 v4, vcc, v4, v2, vcc
	global_load_dwordx2 v[5:6], v[3:4], off
	v_mov_b32_e32 v7, s3
	v_add_co_u32_e32 v1, vcc, s2, v1
	v_addc_co_u32_e32 v2, vcc, v7, v2, vcc
	v_cmp_gt_u32_e32 vcc, 63, v0
	s_waitcnt vmcnt(0)
	global_store_dword v[1:2], v6, off
	global_load_dword v6, v[3:4], off offset:8
	s_waitcnt vmcnt(0)
	global_store_dword v[1:2], v6, off offset:4
	global_load_dword v6, v[3:4], off offset:12
	s_waitcnt vmcnt(0)
	global_store_dword v[1:2], v6, off offset:8
	;; [unrolled: 3-line block ×125, first 2 shown]
	global_load_dword v4, v[3:4], off offset:508
	v_lshlrev_b32_e32 v3, 2, v0
	ds_write_b32 v3, v5
	s_waitcnt vmcnt(0)
	global_store_dword v[1:2], v4, off offset:504
	s_waitcnt lgkmcnt(0)
	; wave barrier
	s_and_saveexec_b64 s[0:1], vcc
	s_cbranch_execz .LBB59_2
; %bb.1:
	ds_read_b32 v0, v3 offset:4
	s_waitcnt lgkmcnt(0)
	global_store_dword v[1:2], v0, off offset:508
.LBB59_2:
	s_endpgm
	.section	.rodata,"a",@progbits
	.p2align	6, 0x0
	.amdhsa_kernel _Z19shuffle_down_kernelILj64ELj128EjEvPT1_S1_
		.amdhsa_group_segment_fixed_size 256
		.amdhsa_private_segment_fixed_size 0
		.amdhsa_kernarg_size 16
		.amdhsa_user_sgpr_count 6
		.amdhsa_user_sgpr_private_segment_buffer 1
		.amdhsa_user_sgpr_dispatch_ptr 0
		.amdhsa_user_sgpr_queue_ptr 0
		.amdhsa_user_sgpr_kernarg_segment_ptr 1
		.amdhsa_user_sgpr_dispatch_id 0
		.amdhsa_user_sgpr_flat_scratch_init 0
		.amdhsa_user_sgpr_private_segment_size 0
		.amdhsa_uses_dynamic_stack 0
		.amdhsa_system_sgpr_private_segment_wavefront_offset 0
		.amdhsa_system_sgpr_workgroup_id_x 1
		.amdhsa_system_sgpr_workgroup_id_y 0
		.amdhsa_system_sgpr_workgroup_id_z 0
		.amdhsa_system_sgpr_workgroup_info 0
		.amdhsa_system_vgpr_workitem_id 0
		.amdhsa_next_free_vgpr 8
		.amdhsa_next_free_sgpr 7
		.amdhsa_reserve_vcc 1
		.amdhsa_reserve_flat_scratch 0
		.amdhsa_float_round_mode_32 0
		.amdhsa_float_round_mode_16_64 0
		.amdhsa_float_denorm_mode_32 3
		.amdhsa_float_denorm_mode_16_64 3
		.amdhsa_dx10_clamp 1
		.amdhsa_ieee_mode 1
		.amdhsa_fp16_overflow 0
		.amdhsa_exception_fp_ieee_invalid_op 0
		.amdhsa_exception_fp_denorm_src 0
		.amdhsa_exception_fp_ieee_div_zero 0
		.amdhsa_exception_fp_ieee_overflow 0
		.amdhsa_exception_fp_ieee_underflow 0
		.amdhsa_exception_fp_ieee_inexact 0
		.amdhsa_exception_int_div_zero 0
	.end_amdhsa_kernel
	.section	.text._Z19shuffle_down_kernelILj64ELj128EjEvPT1_S1_,"axG",@progbits,_Z19shuffle_down_kernelILj64ELj128EjEvPT1_S1_,comdat
.Lfunc_end59:
	.size	_Z19shuffle_down_kernelILj64ELj128EjEvPT1_S1_, .Lfunc_end59-_Z19shuffle_down_kernelILj64ELj128EjEvPT1_S1_
                                        ; -- End function
	.set _Z19shuffle_down_kernelILj64ELj128EjEvPT1_S1_.num_vgpr, 8
	.set _Z19shuffle_down_kernelILj64ELj128EjEvPT1_S1_.num_agpr, 0
	.set _Z19shuffle_down_kernelILj64ELj128EjEvPT1_S1_.numbered_sgpr, 7
	.set _Z19shuffle_down_kernelILj64ELj128EjEvPT1_S1_.num_named_barrier, 0
	.set _Z19shuffle_down_kernelILj64ELj128EjEvPT1_S1_.private_seg_size, 0
	.set _Z19shuffle_down_kernelILj64ELj128EjEvPT1_S1_.uses_vcc, 1
	.set _Z19shuffle_down_kernelILj64ELj128EjEvPT1_S1_.uses_flat_scratch, 0
	.set _Z19shuffle_down_kernelILj64ELj128EjEvPT1_S1_.has_dyn_sized_stack, 0
	.set _Z19shuffle_down_kernelILj64ELj128EjEvPT1_S1_.has_recursion, 0
	.set _Z19shuffle_down_kernelILj64ELj128EjEvPT1_S1_.has_indirect_call, 0
	.section	.AMDGPU.csdata,"",@progbits
; Kernel info:
; codeLenInByte = 2652
; TotalNumSgprs: 11
; NumVgprs: 8
; ScratchSize: 0
; MemoryBound: 1
; FloatMode: 240
; IeeeMode: 1
; LDSByteSize: 256 bytes/workgroup (compile time only)
; SGPRBlocks: 1
; VGPRBlocks: 1
; NumSGPRsForWavesPerEU: 11
; NumVGPRsForWavesPerEU: 8
; Occupancy: 10
; WaveLimiterHint : 1
; COMPUTE_PGM_RSRC2:SCRATCH_EN: 0
; COMPUTE_PGM_RSRC2:USER_SGPR: 6
; COMPUTE_PGM_RSRC2:TRAP_HANDLER: 0
; COMPUTE_PGM_RSRC2:TGID_X_EN: 1
; COMPUTE_PGM_RSRC2:TGID_Y_EN: 0
; COMPUTE_PGM_RSRC2:TGID_Z_EN: 0
; COMPUTE_PGM_RSRC2:TIDIG_COMP_CNT: 0
	.section	.text._Z19shuffle_down_kernelILj255ELj128EiEvPT1_S1_,"axG",@progbits,_Z19shuffle_down_kernelILj255ELj128EiEvPT1_S1_,comdat
	.protected	_Z19shuffle_down_kernelILj255ELj128EiEvPT1_S1_ ; -- Begin function _Z19shuffle_down_kernelILj255ELj128EiEvPT1_S1_
	.globl	_Z19shuffle_down_kernelILj255ELj128EiEvPT1_S1_
	.p2align	8
	.type	_Z19shuffle_down_kernelILj255ELj128EiEvPT1_S1_,@function
_Z19shuffle_down_kernelILj255ELj128EiEvPT1_S1_: ; @_Z19shuffle_down_kernelILj255ELj128EiEvPT1_S1_
; %bb.0:
	s_load_dwordx4 s[0:3], s[4:5], 0x0
	s_mulk_i32 s6, 0xff
	v_add_lshl_u32 v1, s6, v0, 7
	v_mov_b32_e32 v2, 0
	v_lshlrev_b64 v[1:2], 2, v[1:2]
	s_waitcnt lgkmcnt(0)
	v_mov_b32_e32 v4, s1
	v_add_co_u32_e32 v3, vcc, s0, v1
	v_addc_co_u32_e32 v4, vcc, v4, v2, vcc
	global_load_dwordx2 v[5:6], v[3:4], off
	v_mov_b32_e32 v7, s3
	v_add_co_u32_e32 v1, vcc, s2, v1
	v_addc_co_u32_e32 v2, vcc, v7, v2, vcc
	s_movk_i32 s0, 0xfe
	v_cmp_gt_u32_e32 vcc, s0, v0
	s_waitcnt vmcnt(0)
	global_store_dword v[1:2], v6, off
	global_load_dword v6, v[3:4], off offset:8
	s_waitcnt vmcnt(0)
	global_store_dword v[1:2], v6, off offset:4
	global_load_dword v6, v[3:4], off offset:12
	s_waitcnt vmcnt(0)
	global_store_dword v[1:2], v6, off offset:8
	;; [unrolled: 3-line block ×125, first 2 shown]
	global_load_dword v4, v[3:4], off offset:508
	v_lshlrev_b32_e32 v3, 2, v0
	ds_write_b32 v3, v5
	s_waitcnt vmcnt(0)
	global_store_dword v[1:2], v4, off offset:504
	s_waitcnt vmcnt(0) lgkmcnt(0)
	s_barrier
	s_and_saveexec_b64 s[0:1], vcc
	s_cbranch_execz .LBB60_2
; %bb.1:
	ds_read_b32 v0, v3 offset:4
	s_waitcnt lgkmcnt(0)
	global_store_dword v[1:2], v0, off offset:508
.LBB60_2:
	s_endpgm
	.section	.rodata,"a",@progbits
	.p2align	6, 0x0
	.amdhsa_kernel _Z19shuffle_down_kernelILj255ELj128EiEvPT1_S1_
		.amdhsa_group_segment_fixed_size 1020
		.amdhsa_private_segment_fixed_size 0
		.amdhsa_kernarg_size 16
		.amdhsa_user_sgpr_count 6
		.amdhsa_user_sgpr_private_segment_buffer 1
		.amdhsa_user_sgpr_dispatch_ptr 0
		.amdhsa_user_sgpr_queue_ptr 0
		.amdhsa_user_sgpr_kernarg_segment_ptr 1
		.amdhsa_user_sgpr_dispatch_id 0
		.amdhsa_user_sgpr_flat_scratch_init 0
		.amdhsa_user_sgpr_private_segment_size 0
		.amdhsa_uses_dynamic_stack 0
		.amdhsa_system_sgpr_private_segment_wavefront_offset 0
		.amdhsa_system_sgpr_workgroup_id_x 1
		.amdhsa_system_sgpr_workgroup_id_y 0
		.amdhsa_system_sgpr_workgroup_id_z 0
		.amdhsa_system_sgpr_workgroup_info 0
		.amdhsa_system_vgpr_workitem_id 0
		.amdhsa_next_free_vgpr 8
		.amdhsa_next_free_sgpr 7
		.amdhsa_reserve_vcc 1
		.amdhsa_reserve_flat_scratch 0
		.amdhsa_float_round_mode_32 0
		.amdhsa_float_round_mode_16_64 0
		.amdhsa_float_denorm_mode_32 3
		.amdhsa_float_denorm_mode_16_64 3
		.amdhsa_dx10_clamp 1
		.amdhsa_ieee_mode 1
		.amdhsa_fp16_overflow 0
		.amdhsa_exception_fp_ieee_invalid_op 0
		.amdhsa_exception_fp_denorm_src 0
		.amdhsa_exception_fp_ieee_div_zero 0
		.amdhsa_exception_fp_ieee_overflow 0
		.amdhsa_exception_fp_ieee_underflow 0
		.amdhsa_exception_fp_ieee_inexact 0
		.amdhsa_exception_int_div_zero 0
	.end_amdhsa_kernel
	.section	.text._Z19shuffle_down_kernelILj255ELj128EiEvPT1_S1_,"axG",@progbits,_Z19shuffle_down_kernelILj255ELj128EiEvPT1_S1_,comdat
.Lfunc_end60:
	.size	_Z19shuffle_down_kernelILj255ELj128EiEvPT1_S1_, .Lfunc_end60-_Z19shuffle_down_kernelILj255ELj128EiEvPT1_S1_
                                        ; -- End function
	.set _Z19shuffle_down_kernelILj255ELj128EiEvPT1_S1_.num_vgpr, 8
	.set _Z19shuffle_down_kernelILj255ELj128EiEvPT1_S1_.num_agpr, 0
	.set _Z19shuffle_down_kernelILj255ELj128EiEvPT1_S1_.numbered_sgpr, 7
	.set _Z19shuffle_down_kernelILj255ELj128EiEvPT1_S1_.num_named_barrier, 0
	.set _Z19shuffle_down_kernelILj255ELj128EiEvPT1_S1_.private_seg_size, 0
	.set _Z19shuffle_down_kernelILj255ELj128EiEvPT1_S1_.uses_vcc, 1
	.set _Z19shuffle_down_kernelILj255ELj128EiEvPT1_S1_.uses_flat_scratch, 0
	.set _Z19shuffle_down_kernelILj255ELj128EiEvPT1_S1_.has_dyn_sized_stack, 0
	.set _Z19shuffle_down_kernelILj255ELj128EiEvPT1_S1_.has_recursion, 0
	.set _Z19shuffle_down_kernelILj255ELj128EiEvPT1_S1_.has_indirect_call, 0
	.section	.AMDGPU.csdata,"",@progbits
; Kernel info:
; codeLenInByte = 2660
; TotalNumSgprs: 11
; NumVgprs: 8
; ScratchSize: 0
; MemoryBound: 1
; FloatMode: 240
; IeeeMode: 1
; LDSByteSize: 1020 bytes/workgroup (compile time only)
; SGPRBlocks: 1
; VGPRBlocks: 1
; NumSGPRsForWavesPerEU: 11
; NumVGPRsForWavesPerEU: 8
; Occupancy: 10
; WaveLimiterHint : 1
; COMPUTE_PGM_RSRC2:SCRATCH_EN: 0
; COMPUTE_PGM_RSRC2:USER_SGPR: 6
; COMPUTE_PGM_RSRC2:TRAP_HANDLER: 0
; COMPUTE_PGM_RSRC2:TGID_X_EN: 1
; COMPUTE_PGM_RSRC2:TGID_Y_EN: 0
; COMPUTE_PGM_RSRC2:TGID_Z_EN: 0
; COMPUTE_PGM_RSRC2:TIDIG_COMP_CNT: 0
	.section	.text._Z19shuffle_down_kernelILj162ELj128EiEvPT1_S1_,"axG",@progbits,_Z19shuffle_down_kernelILj162ELj128EiEvPT1_S1_,comdat
	.protected	_Z19shuffle_down_kernelILj162ELj128EiEvPT1_S1_ ; -- Begin function _Z19shuffle_down_kernelILj162ELj128EiEvPT1_S1_
	.globl	_Z19shuffle_down_kernelILj162ELj128EiEvPT1_S1_
	.p2align	8
	.type	_Z19shuffle_down_kernelILj162ELj128EiEvPT1_S1_,@function
_Z19shuffle_down_kernelILj162ELj128EiEvPT1_S1_: ; @_Z19shuffle_down_kernelILj162ELj128EiEvPT1_S1_
; %bb.0:
	s_load_dwordx4 s[0:3], s[4:5], 0x0
	s_mulk_i32 s6, 0xa2
	v_add_lshl_u32 v1, s6, v0, 7
	v_mov_b32_e32 v2, 0
	v_lshlrev_b64 v[1:2], 2, v[1:2]
	s_waitcnt lgkmcnt(0)
	v_mov_b32_e32 v4, s1
	v_add_co_u32_e32 v3, vcc, s0, v1
	v_addc_co_u32_e32 v4, vcc, v4, v2, vcc
	global_load_dwordx2 v[5:6], v[3:4], off
	v_mov_b32_e32 v7, s3
	v_add_co_u32_e32 v1, vcc, s2, v1
	v_addc_co_u32_e32 v2, vcc, v7, v2, vcc
	s_movk_i32 s0, 0xa1
	v_cmp_gt_u32_e32 vcc, s0, v0
	s_waitcnt vmcnt(0)
	global_store_dword v[1:2], v6, off
	global_load_dword v6, v[3:4], off offset:8
	s_waitcnt vmcnt(0)
	global_store_dword v[1:2], v6, off offset:4
	global_load_dword v6, v[3:4], off offset:12
	s_waitcnt vmcnt(0)
	global_store_dword v[1:2], v6, off offset:8
	;; [unrolled: 3-line block ×125, first 2 shown]
	global_load_dword v4, v[3:4], off offset:508
	v_lshlrev_b32_e32 v3, 2, v0
	ds_write_b32 v3, v5
	s_waitcnt vmcnt(0)
	global_store_dword v[1:2], v4, off offset:504
	s_waitcnt vmcnt(0) lgkmcnt(0)
	s_barrier
	s_and_saveexec_b64 s[0:1], vcc
	s_cbranch_execz .LBB61_2
; %bb.1:
	ds_read_b32 v0, v3 offset:4
	s_waitcnt lgkmcnt(0)
	global_store_dword v[1:2], v0, off offset:508
.LBB61_2:
	s_endpgm
	.section	.rodata,"a",@progbits
	.p2align	6, 0x0
	.amdhsa_kernel _Z19shuffle_down_kernelILj162ELj128EiEvPT1_S1_
		.amdhsa_group_segment_fixed_size 648
		.amdhsa_private_segment_fixed_size 0
		.amdhsa_kernarg_size 16
		.amdhsa_user_sgpr_count 6
		.amdhsa_user_sgpr_private_segment_buffer 1
		.amdhsa_user_sgpr_dispatch_ptr 0
		.amdhsa_user_sgpr_queue_ptr 0
		.amdhsa_user_sgpr_kernarg_segment_ptr 1
		.amdhsa_user_sgpr_dispatch_id 0
		.amdhsa_user_sgpr_flat_scratch_init 0
		.amdhsa_user_sgpr_private_segment_size 0
		.amdhsa_uses_dynamic_stack 0
		.amdhsa_system_sgpr_private_segment_wavefront_offset 0
		.amdhsa_system_sgpr_workgroup_id_x 1
		.amdhsa_system_sgpr_workgroup_id_y 0
		.amdhsa_system_sgpr_workgroup_id_z 0
		.amdhsa_system_sgpr_workgroup_info 0
		.amdhsa_system_vgpr_workitem_id 0
		.amdhsa_next_free_vgpr 8
		.amdhsa_next_free_sgpr 7
		.amdhsa_reserve_vcc 1
		.amdhsa_reserve_flat_scratch 0
		.amdhsa_float_round_mode_32 0
		.amdhsa_float_round_mode_16_64 0
		.amdhsa_float_denorm_mode_32 3
		.amdhsa_float_denorm_mode_16_64 3
		.amdhsa_dx10_clamp 1
		.amdhsa_ieee_mode 1
		.amdhsa_fp16_overflow 0
		.amdhsa_exception_fp_ieee_invalid_op 0
		.amdhsa_exception_fp_denorm_src 0
		.amdhsa_exception_fp_ieee_div_zero 0
		.amdhsa_exception_fp_ieee_overflow 0
		.amdhsa_exception_fp_ieee_underflow 0
		.amdhsa_exception_fp_ieee_inexact 0
		.amdhsa_exception_int_div_zero 0
	.end_amdhsa_kernel
	.section	.text._Z19shuffle_down_kernelILj162ELj128EiEvPT1_S1_,"axG",@progbits,_Z19shuffle_down_kernelILj162ELj128EiEvPT1_S1_,comdat
.Lfunc_end61:
	.size	_Z19shuffle_down_kernelILj162ELj128EiEvPT1_S1_, .Lfunc_end61-_Z19shuffle_down_kernelILj162ELj128EiEvPT1_S1_
                                        ; -- End function
	.set _Z19shuffle_down_kernelILj162ELj128EiEvPT1_S1_.num_vgpr, 8
	.set _Z19shuffle_down_kernelILj162ELj128EiEvPT1_S1_.num_agpr, 0
	.set _Z19shuffle_down_kernelILj162ELj128EiEvPT1_S1_.numbered_sgpr, 7
	.set _Z19shuffle_down_kernelILj162ELj128EiEvPT1_S1_.num_named_barrier, 0
	.set _Z19shuffle_down_kernelILj162ELj128EiEvPT1_S1_.private_seg_size, 0
	.set _Z19shuffle_down_kernelILj162ELj128EiEvPT1_S1_.uses_vcc, 1
	.set _Z19shuffle_down_kernelILj162ELj128EiEvPT1_S1_.uses_flat_scratch, 0
	.set _Z19shuffle_down_kernelILj162ELj128EiEvPT1_S1_.has_dyn_sized_stack, 0
	.set _Z19shuffle_down_kernelILj162ELj128EiEvPT1_S1_.has_recursion, 0
	.set _Z19shuffle_down_kernelILj162ELj128EiEvPT1_S1_.has_indirect_call, 0
	.section	.AMDGPU.csdata,"",@progbits
; Kernel info:
; codeLenInByte = 2660
; TotalNumSgprs: 11
; NumVgprs: 8
; ScratchSize: 0
; MemoryBound: 1
; FloatMode: 240
; IeeeMode: 1
; LDSByteSize: 648 bytes/workgroup (compile time only)
; SGPRBlocks: 1
; VGPRBlocks: 1
; NumSGPRsForWavesPerEU: 11
; NumVGPRsForWavesPerEU: 8
; Occupancy: 10
; WaveLimiterHint : 1
; COMPUTE_PGM_RSRC2:SCRATCH_EN: 0
; COMPUTE_PGM_RSRC2:USER_SGPR: 6
; COMPUTE_PGM_RSRC2:TRAP_HANDLER: 0
; COMPUTE_PGM_RSRC2:TGID_X_EN: 1
; COMPUTE_PGM_RSRC2:TGID_Y_EN: 0
; COMPUTE_PGM_RSRC2:TGID_Z_EN: 0
; COMPUTE_PGM_RSRC2:TIDIG_COMP_CNT: 0
	.section	.text._Z19shuffle_down_kernelILj37ELj128EiEvPT1_S1_,"axG",@progbits,_Z19shuffle_down_kernelILj37ELj128EiEvPT1_S1_,comdat
	.protected	_Z19shuffle_down_kernelILj37ELj128EiEvPT1_S1_ ; -- Begin function _Z19shuffle_down_kernelILj37ELj128EiEvPT1_S1_
	.globl	_Z19shuffle_down_kernelILj37ELj128EiEvPT1_S1_
	.p2align	8
	.type	_Z19shuffle_down_kernelILj37ELj128EiEvPT1_S1_,@function
_Z19shuffle_down_kernelILj37ELj128EiEvPT1_S1_: ; @_Z19shuffle_down_kernelILj37ELj128EiEvPT1_S1_
; %bb.0:
	s_load_dwordx4 s[0:3], s[4:5], 0x0
	s_mul_i32 s6, s6, 37
	v_add_lshl_u32 v1, s6, v0, 7
	v_mov_b32_e32 v2, 0
	v_lshlrev_b64 v[1:2], 2, v[1:2]
	s_waitcnt lgkmcnt(0)
	v_mov_b32_e32 v4, s1
	v_add_co_u32_e32 v3, vcc, s0, v1
	v_addc_co_u32_e32 v4, vcc, v4, v2, vcc
	global_load_dwordx2 v[5:6], v[3:4], off
	v_mov_b32_e32 v7, s3
	v_add_co_u32_e32 v1, vcc, s2, v1
	v_addc_co_u32_e32 v2, vcc, v7, v2, vcc
	v_cmp_gt_u32_e32 vcc, 36, v0
	s_waitcnt vmcnt(0)
	global_store_dword v[1:2], v6, off
	global_load_dword v6, v[3:4], off offset:8
	s_waitcnt vmcnt(0)
	global_store_dword v[1:2], v6, off offset:4
	global_load_dword v6, v[3:4], off offset:12
	s_waitcnt vmcnt(0)
	global_store_dword v[1:2], v6, off offset:8
	;; [unrolled: 3-line block ×125, first 2 shown]
	global_load_dword v4, v[3:4], off offset:508
	v_lshlrev_b32_e32 v3, 2, v0
	ds_write_b32 v3, v5
	s_waitcnt vmcnt(0)
	global_store_dword v[1:2], v4, off offset:504
	s_waitcnt lgkmcnt(0)
	; wave barrier
	s_and_saveexec_b64 s[0:1], vcc
	s_cbranch_execz .LBB62_2
; %bb.1:
	ds_read_b32 v0, v3 offset:4
	s_waitcnt lgkmcnt(0)
	global_store_dword v[1:2], v0, off offset:508
.LBB62_2:
	s_endpgm
	.section	.rodata,"a",@progbits
	.p2align	6, 0x0
	.amdhsa_kernel _Z19shuffle_down_kernelILj37ELj128EiEvPT1_S1_
		.amdhsa_group_segment_fixed_size 148
		.amdhsa_private_segment_fixed_size 0
		.amdhsa_kernarg_size 16
		.amdhsa_user_sgpr_count 6
		.amdhsa_user_sgpr_private_segment_buffer 1
		.amdhsa_user_sgpr_dispatch_ptr 0
		.amdhsa_user_sgpr_queue_ptr 0
		.amdhsa_user_sgpr_kernarg_segment_ptr 1
		.amdhsa_user_sgpr_dispatch_id 0
		.amdhsa_user_sgpr_flat_scratch_init 0
		.amdhsa_user_sgpr_private_segment_size 0
		.amdhsa_uses_dynamic_stack 0
		.amdhsa_system_sgpr_private_segment_wavefront_offset 0
		.amdhsa_system_sgpr_workgroup_id_x 1
		.amdhsa_system_sgpr_workgroup_id_y 0
		.amdhsa_system_sgpr_workgroup_id_z 0
		.amdhsa_system_sgpr_workgroup_info 0
		.amdhsa_system_vgpr_workitem_id 0
		.amdhsa_next_free_vgpr 8
		.amdhsa_next_free_sgpr 7
		.amdhsa_reserve_vcc 1
		.amdhsa_reserve_flat_scratch 0
		.amdhsa_float_round_mode_32 0
		.amdhsa_float_round_mode_16_64 0
		.amdhsa_float_denorm_mode_32 3
		.amdhsa_float_denorm_mode_16_64 3
		.amdhsa_dx10_clamp 1
		.amdhsa_ieee_mode 1
		.amdhsa_fp16_overflow 0
		.amdhsa_exception_fp_ieee_invalid_op 0
		.amdhsa_exception_fp_denorm_src 0
		.amdhsa_exception_fp_ieee_div_zero 0
		.amdhsa_exception_fp_ieee_overflow 0
		.amdhsa_exception_fp_ieee_underflow 0
		.amdhsa_exception_fp_ieee_inexact 0
		.amdhsa_exception_int_div_zero 0
	.end_amdhsa_kernel
	.section	.text._Z19shuffle_down_kernelILj37ELj128EiEvPT1_S1_,"axG",@progbits,_Z19shuffle_down_kernelILj37ELj128EiEvPT1_S1_,comdat
.Lfunc_end62:
	.size	_Z19shuffle_down_kernelILj37ELj128EiEvPT1_S1_, .Lfunc_end62-_Z19shuffle_down_kernelILj37ELj128EiEvPT1_S1_
                                        ; -- End function
	.set _Z19shuffle_down_kernelILj37ELj128EiEvPT1_S1_.num_vgpr, 8
	.set _Z19shuffle_down_kernelILj37ELj128EiEvPT1_S1_.num_agpr, 0
	.set _Z19shuffle_down_kernelILj37ELj128EiEvPT1_S1_.numbered_sgpr, 7
	.set _Z19shuffle_down_kernelILj37ELj128EiEvPT1_S1_.num_named_barrier, 0
	.set _Z19shuffle_down_kernelILj37ELj128EiEvPT1_S1_.private_seg_size, 0
	.set _Z19shuffle_down_kernelILj37ELj128EiEvPT1_S1_.uses_vcc, 1
	.set _Z19shuffle_down_kernelILj37ELj128EiEvPT1_S1_.uses_flat_scratch, 0
	.set _Z19shuffle_down_kernelILj37ELj128EiEvPT1_S1_.has_dyn_sized_stack, 0
	.set _Z19shuffle_down_kernelILj37ELj128EiEvPT1_S1_.has_recursion, 0
	.set _Z19shuffle_down_kernelILj37ELj128EiEvPT1_S1_.has_indirect_call, 0
	.section	.AMDGPU.csdata,"",@progbits
; Kernel info:
; codeLenInByte = 2652
; TotalNumSgprs: 11
; NumVgprs: 8
; ScratchSize: 0
; MemoryBound: 1
; FloatMode: 240
; IeeeMode: 1
; LDSByteSize: 148 bytes/workgroup (compile time only)
; SGPRBlocks: 1
; VGPRBlocks: 1
; NumSGPRsForWavesPerEU: 11
; NumVGPRsForWavesPerEU: 8
; Occupancy: 10
; WaveLimiterHint : 1
; COMPUTE_PGM_RSRC2:SCRATCH_EN: 0
; COMPUTE_PGM_RSRC2:USER_SGPR: 6
; COMPUTE_PGM_RSRC2:TRAP_HANDLER: 0
; COMPUTE_PGM_RSRC2:TGID_X_EN: 1
; COMPUTE_PGM_RSRC2:TGID_Y_EN: 0
; COMPUTE_PGM_RSRC2:TGID_Z_EN: 0
; COMPUTE_PGM_RSRC2:TIDIG_COMP_CNT: 0
	.section	.text._Z19shuffle_down_kernelILj65ELj128EiEvPT1_S1_,"axG",@progbits,_Z19shuffle_down_kernelILj65ELj128EiEvPT1_S1_,comdat
	.protected	_Z19shuffle_down_kernelILj65ELj128EiEvPT1_S1_ ; -- Begin function _Z19shuffle_down_kernelILj65ELj128EiEvPT1_S1_
	.globl	_Z19shuffle_down_kernelILj65ELj128EiEvPT1_S1_
	.p2align	8
	.type	_Z19shuffle_down_kernelILj65ELj128EiEvPT1_S1_,@function
_Z19shuffle_down_kernelILj65ELj128EiEvPT1_S1_: ; @_Z19shuffle_down_kernelILj65ELj128EiEvPT1_S1_
; %bb.0:
	s_load_dwordx4 s[0:3], s[4:5], 0x0
	s_mulk_i32 s6, 0x41
	v_add_lshl_u32 v1, s6, v0, 7
	v_mov_b32_e32 v2, 0
	v_lshlrev_b64 v[1:2], 2, v[1:2]
	s_waitcnt lgkmcnt(0)
	v_mov_b32_e32 v4, s1
	v_add_co_u32_e32 v3, vcc, s0, v1
	v_addc_co_u32_e32 v4, vcc, v4, v2, vcc
	global_load_dwordx2 v[5:6], v[3:4], off
	v_mov_b32_e32 v7, s3
	v_add_co_u32_e32 v1, vcc, s2, v1
	v_addc_co_u32_e32 v2, vcc, v7, v2, vcc
	v_cmp_gt_u32_e32 vcc, 64, v0
	s_waitcnt vmcnt(0)
	global_store_dword v[1:2], v6, off
	global_load_dword v6, v[3:4], off offset:8
	s_waitcnt vmcnt(0)
	global_store_dword v[1:2], v6, off offset:4
	global_load_dword v6, v[3:4], off offset:12
	s_waitcnt vmcnt(0)
	global_store_dword v[1:2], v6, off offset:8
	;; [unrolled: 3-line block ×125, first 2 shown]
	global_load_dword v4, v[3:4], off offset:508
	v_lshlrev_b32_e32 v3, 2, v0
	ds_write_b32 v3, v5
	s_waitcnt vmcnt(0)
	global_store_dword v[1:2], v4, off offset:504
	s_waitcnt vmcnt(0) lgkmcnt(0)
	s_barrier
	s_and_saveexec_b64 s[0:1], vcc
	s_cbranch_execz .LBB63_2
; %bb.1:
	ds_read_b32 v0, v3 offset:4
	s_waitcnt lgkmcnt(0)
	global_store_dword v[1:2], v0, off offset:508
.LBB63_2:
	s_endpgm
	.section	.rodata,"a",@progbits
	.p2align	6, 0x0
	.amdhsa_kernel _Z19shuffle_down_kernelILj65ELj128EiEvPT1_S1_
		.amdhsa_group_segment_fixed_size 260
		.amdhsa_private_segment_fixed_size 0
		.amdhsa_kernarg_size 16
		.amdhsa_user_sgpr_count 6
		.amdhsa_user_sgpr_private_segment_buffer 1
		.amdhsa_user_sgpr_dispatch_ptr 0
		.amdhsa_user_sgpr_queue_ptr 0
		.amdhsa_user_sgpr_kernarg_segment_ptr 1
		.amdhsa_user_sgpr_dispatch_id 0
		.amdhsa_user_sgpr_flat_scratch_init 0
		.amdhsa_user_sgpr_private_segment_size 0
		.amdhsa_uses_dynamic_stack 0
		.amdhsa_system_sgpr_private_segment_wavefront_offset 0
		.amdhsa_system_sgpr_workgroup_id_x 1
		.amdhsa_system_sgpr_workgroup_id_y 0
		.amdhsa_system_sgpr_workgroup_id_z 0
		.amdhsa_system_sgpr_workgroup_info 0
		.amdhsa_system_vgpr_workitem_id 0
		.amdhsa_next_free_vgpr 8
		.amdhsa_next_free_sgpr 7
		.amdhsa_reserve_vcc 1
		.amdhsa_reserve_flat_scratch 0
		.amdhsa_float_round_mode_32 0
		.amdhsa_float_round_mode_16_64 0
		.amdhsa_float_denorm_mode_32 3
		.amdhsa_float_denorm_mode_16_64 3
		.amdhsa_dx10_clamp 1
		.amdhsa_ieee_mode 1
		.amdhsa_fp16_overflow 0
		.amdhsa_exception_fp_ieee_invalid_op 0
		.amdhsa_exception_fp_denorm_src 0
		.amdhsa_exception_fp_ieee_div_zero 0
		.amdhsa_exception_fp_ieee_overflow 0
		.amdhsa_exception_fp_ieee_underflow 0
		.amdhsa_exception_fp_ieee_inexact 0
		.amdhsa_exception_int_div_zero 0
	.end_amdhsa_kernel
	.section	.text._Z19shuffle_down_kernelILj65ELj128EiEvPT1_S1_,"axG",@progbits,_Z19shuffle_down_kernelILj65ELj128EiEvPT1_S1_,comdat
.Lfunc_end63:
	.size	_Z19shuffle_down_kernelILj65ELj128EiEvPT1_S1_, .Lfunc_end63-_Z19shuffle_down_kernelILj65ELj128EiEvPT1_S1_
                                        ; -- End function
	.set _Z19shuffle_down_kernelILj65ELj128EiEvPT1_S1_.num_vgpr, 8
	.set _Z19shuffle_down_kernelILj65ELj128EiEvPT1_S1_.num_agpr, 0
	.set _Z19shuffle_down_kernelILj65ELj128EiEvPT1_S1_.numbered_sgpr, 7
	.set _Z19shuffle_down_kernelILj65ELj128EiEvPT1_S1_.num_named_barrier, 0
	.set _Z19shuffle_down_kernelILj65ELj128EiEvPT1_S1_.private_seg_size, 0
	.set _Z19shuffle_down_kernelILj65ELj128EiEvPT1_S1_.uses_vcc, 1
	.set _Z19shuffle_down_kernelILj65ELj128EiEvPT1_S1_.uses_flat_scratch, 0
	.set _Z19shuffle_down_kernelILj65ELj128EiEvPT1_S1_.has_dyn_sized_stack, 0
	.set _Z19shuffle_down_kernelILj65ELj128EiEvPT1_S1_.has_recursion, 0
	.set _Z19shuffle_down_kernelILj65ELj128EiEvPT1_S1_.has_indirect_call, 0
	.section	.AMDGPU.csdata,"",@progbits
; Kernel info:
; codeLenInByte = 2656
; TotalNumSgprs: 11
; NumVgprs: 8
; ScratchSize: 0
; MemoryBound: 1
; FloatMode: 240
; IeeeMode: 1
; LDSByteSize: 260 bytes/workgroup (compile time only)
; SGPRBlocks: 1
; VGPRBlocks: 1
; NumSGPRsForWavesPerEU: 11
; NumVGPRsForWavesPerEU: 8
; Occupancy: 10
; WaveLimiterHint : 1
; COMPUTE_PGM_RSRC2:SCRATCH_EN: 0
; COMPUTE_PGM_RSRC2:USER_SGPR: 6
; COMPUTE_PGM_RSRC2:TRAP_HANDLER: 0
; COMPUTE_PGM_RSRC2:TGID_X_EN: 1
; COMPUTE_PGM_RSRC2:TGID_Y_EN: 0
; COMPUTE_PGM_RSRC2:TGID_Z_EN: 0
; COMPUTE_PGM_RSRC2:TIDIG_COMP_CNT: 0
	.section	.text._Z19shuffle_down_kernelILj512ELj128EiEvPT1_S1_,"axG",@progbits,_Z19shuffle_down_kernelILj512ELj128EiEvPT1_S1_,comdat
	.protected	_Z19shuffle_down_kernelILj512ELj128EiEvPT1_S1_ ; -- Begin function _Z19shuffle_down_kernelILj512ELj128EiEvPT1_S1_
	.globl	_Z19shuffle_down_kernelILj512ELj128EiEvPT1_S1_
	.p2align	8
	.type	_Z19shuffle_down_kernelILj512ELj128EiEvPT1_S1_,@function
_Z19shuffle_down_kernelILj512ELj128EiEvPT1_S1_: ; @_Z19shuffle_down_kernelILj512ELj128EiEvPT1_S1_
; %bb.0:
	s_load_dwordx4 s[0:3], s[4:5], 0x0
	v_lshlrev_b32_e32 v1, 7, v0
	v_lshl_or_b32 v1, s6, 16, v1
	v_mov_b32_e32 v2, 0
	v_lshlrev_b64 v[1:2], 2, v[1:2]
	s_waitcnt lgkmcnt(0)
	v_mov_b32_e32 v4, s1
	v_add_co_u32_e32 v3, vcc, s0, v1
	v_addc_co_u32_e32 v4, vcc, v4, v2, vcc
	global_load_dwordx2 v[5:6], v[3:4], off
	v_mov_b32_e32 v7, s3
	v_add_co_u32_e32 v1, vcc, s2, v1
	v_addc_co_u32_e32 v2, vcc, v7, v2, vcc
	s_movk_i32 s0, 0x1ff
	v_cmp_gt_u32_e32 vcc, s0, v0
	s_waitcnt vmcnt(0)
	global_store_dword v[1:2], v6, off
	global_load_dword v6, v[3:4], off offset:8
	s_waitcnt vmcnt(0)
	global_store_dword v[1:2], v6, off offset:4
	global_load_dword v6, v[3:4], off offset:12
	s_waitcnt vmcnt(0)
	global_store_dword v[1:2], v6, off offset:8
	;; [unrolled: 3-line block ×125, first 2 shown]
	global_load_dword v4, v[3:4], off offset:508
	v_lshlrev_b32_e32 v3, 2, v0
	ds_write_b32 v3, v5
	s_waitcnt vmcnt(0)
	global_store_dword v[1:2], v4, off offset:504
	s_waitcnt vmcnt(0) lgkmcnt(0)
	s_barrier
	s_and_saveexec_b64 s[0:1], vcc
	s_cbranch_execz .LBB64_2
; %bb.1:
	ds_read_b32 v0, v3 offset:4
	s_waitcnt lgkmcnt(0)
	global_store_dword v[1:2], v0, off offset:508
.LBB64_2:
	s_endpgm
	.section	.rodata,"a",@progbits
	.p2align	6, 0x0
	.amdhsa_kernel _Z19shuffle_down_kernelILj512ELj128EiEvPT1_S1_
		.amdhsa_group_segment_fixed_size 2048
		.amdhsa_private_segment_fixed_size 0
		.amdhsa_kernarg_size 16
		.amdhsa_user_sgpr_count 6
		.amdhsa_user_sgpr_private_segment_buffer 1
		.amdhsa_user_sgpr_dispatch_ptr 0
		.amdhsa_user_sgpr_queue_ptr 0
		.amdhsa_user_sgpr_kernarg_segment_ptr 1
		.amdhsa_user_sgpr_dispatch_id 0
		.amdhsa_user_sgpr_flat_scratch_init 0
		.amdhsa_user_sgpr_private_segment_size 0
		.amdhsa_uses_dynamic_stack 0
		.amdhsa_system_sgpr_private_segment_wavefront_offset 0
		.amdhsa_system_sgpr_workgroup_id_x 1
		.amdhsa_system_sgpr_workgroup_id_y 0
		.amdhsa_system_sgpr_workgroup_id_z 0
		.amdhsa_system_sgpr_workgroup_info 0
		.amdhsa_system_vgpr_workitem_id 0
		.amdhsa_next_free_vgpr 8
		.amdhsa_next_free_sgpr 7
		.amdhsa_reserve_vcc 1
		.amdhsa_reserve_flat_scratch 0
		.amdhsa_float_round_mode_32 0
		.amdhsa_float_round_mode_16_64 0
		.amdhsa_float_denorm_mode_32 3
		.amdhsa_float_denorm_mode_16_64 3
		.amdhsa_dx10_clamp 1
		.amdhsa_ieee_mode 1
		.amdhsa_fp16_overflow 0
		.amdhsa_exception_fp_ieee_invalid_op 0
		.amdhsa_exception_fp_denorm_src 0
		.amdhsa_exception_fp_ieee_div_zero 0
		.amdhsa_exception_fp_ieee_overflow 0
		.amdhsa_exception_fp_ieee_underflow 0
		.amdhsa_exception_fp_ieee_inexact 0
		.amdhsa_exception_int_div_zero 0
	.end_amdhsa_kernel
	.section	.text._Z19shuffle_down_kernelILj512ELj128EiEvPT1_S1_,"axG",@progbits,_Z19shuffle_down_kernelILj512ELj128EiEvPT1_S1_,comdat
.Lfunc_end64:
	.size	_Z19shuffle_down_kernelILj512ELj128EiEvPT1_S1_, .Lfunc_end64-_Z19shuffle_down_kernelILj512ELj128EiEvPT1_S1_
                                        ; -- End function
	.set _Z19shuffle_down_kernelILj512ELj128EiEvPT1_S1_.num_vgpr, 8
	.set _Z19shuffle_down_kernelILj512ELj128EiEvPT1_S1_.num_agpr, 0
	.set _Z19shuffle_down_kernelILj512ELj128EiEvPT1_S1_.numbered_sgpr, 7
	.set _Z19shuffle_down_kernelILj512ELj128EiEvPT1_S1_.num_named_barrier, 0
	.set _Z19shuffle_down_kernelILj512ELj128EiEvPT1_S1_.private_seg_size, 0
	.set _Z19shuffle_down_kernelILj512ELj128EiEvPT1_S1_.uses_vcc, 1
	.set _Z19shuffle_down_kernelILj512ELj128EiEvPT1_S1_.uses_flat_scratch, 0
	.set _Z19shuffle_down_kernelILj512ELj128EiEvPT1_S1_.has_dyn_sized_stack, 0
	.set _Z19shuffle_down_kernelILj512ELj128EiEvPT1_S1_.has_recursion, 0
	.set _Z19shuffle_down_kernelILj512ELj128EiEvPT1_S1_.has_indirect_call, 0
	.section	.AMDGPU.csdata,"",@progbits
; Kernel info:
; codeLenInByte = 2660
; TotalNumSgprs: 11
; NumVgprs: 8
; ScratchSize: 0
; MemoryBound: 1
; FloatMode: 240
; IeeeMode: 1
; LDSByteSize: 2048 bytes/workgroup (compile time only)
; SGPRBlocks: 1
; VGPRBlocks: 1
; NumSGPRsForWavesPerEU: 11
; NumVGPRsForWavesPerEU: 8
; Occupancy: 10
; WaveLimiterHint : 1
; COMPUTE_PGM_RSRC2:SCRATCH_EN: 0
; COMPUTE_PGM_RSRC2:USER_SGPR: 6
; COMPUTE_PGM_RSRC2:TRAP_HANDLER: 0
; COMPUTE_PGM_RSRC2:TGID_X_EN: 1
; COMPUTE_PGM_RSRC2:TGID_Y_EN: 0
; COMPUTE_PGM_RSRC2:TGID_Z_EN: 0
; COMPUTE_PGM_RSRC2:TIDIG_COMP_CNT: 0
	.section	.text._Z19shuffle_down_kernelILj256ELj128EiEvPT1_S1_,"axG",@progbits,_Z19shuffle_down_kernelILj256ELj128EiEvPT1_S1_,comdat
	.protected	_Z19shuffle_down_kernelILj256ELj128EiEvPT1_S1_ ; -- Begin function _Z19shuffle_down_kernelILj256ELj128EiEvPT1_S1_
	.globl	_Z19shuffle_down_kernelILj256ELj128EiEvPT1_S1_
	.p2align	8
	.type	_Z19shuffle_down_kernelILj256ELj128EiEvPT1_S1_,@function
_Z19shuffle_down_kernelILj256ELj128EiEvPT1_S1_: ; @_Z19shuffle_down_kernelILj256ELj128EiEvPT1_S1_
; %bb.0:
	s_load_dwordx4 s[0:3], s[4:5], 0x0
	v_lshlrev_b32_e32 v1, 7, v0
	v_lshl_or_b32 v1, s6, 15, v1
	v_mov_b32_e32 v2, 0
	v_lshlrev_b64 v[1:2], 2, v[1:2]
	s_waitcnt lgkmcnt(0)
	v_mov_b32_e32 v4, s1
	v_add_co_u32_e32 v3, vcc, s0, v1
	v_addc_co_u32_e32 v4, vcc, v4, v2, vcc
	global_load_dwordx2 v[5:6], v[3:4], off
	v_mov_b32_e32 v7, s3
	v_add_co_u32_e32 v1, vcc, s2, v1
	v_addc_co_u32_e32 v2, vcc, v7, v2, vcc
	s_movk_i32 s0, 0xff
	v_cmp_gt_u32_e32 vcc, s0, v0
	s_waitcnt vmcnt(0)
	global_store_dword v[1:2], v6, off
	global_load_dword v6, v[3:4], off offset:8
	s_waitcnt vmcnt(0)
	global_store_dword v[1:2], v6, off offset:4
	global_load_dword v6, v[3:4], off offset:12
	s_waitcnt vmcnt(0)
	global_store_dword v[1:2], v6, off offset:8
	global_load_dword v6, v[3:4], off offset:16
	s_waitcnt vmcnt(0)
	global_store_dword v[1:2], v6, off offset:12
	global_load_dword v6, v[3:4], off offset:20
	s_waitcnt vmcnt(0)
	global_store_dword v[1:2], v6, off offset:16
	global_load_dword v6, v[3:4], off offset:24
	s_waitcnt vmcnt(0)
	global_store_dword v[1:2], v6, off offset:20
	global_load_dword v6, v[3:4], off offset:28
	s_waitcnt vmcnt(0)
	global_store_dword v[1:2], v6, off offset:24
	global_load_dword v6, v[3:4], off offset:32
	s_waitcnt vmcnt(0)
	global_store_dword v[1:2], v6, off offset:28
	global_load_dword v6, v[3:4], off offset:36
	s_waitcnt vmcnt(0)
	global_store_dword v[1:2], v6, off offset:32
	global_load_dword v6, v[3:4], off offset:40
	s_waitcnt vmcnt(0)
	global_store_dword v[1:2], v6, off offset:36
	global_load_dword v6, v[3:4], off offset:44
	s_waitcnt vmcnt(0)
	global_store_dword v[1:2], v6, off offset:40
	global_load_dword v6, v[3:4], off offset:48
	s_waitcnt vmcnt(0)
	global_store_dword v[1:2], v6, off offset:44
	global_load_dword v6, v[3:4], off offset:52
	s_waitcnt vmcnt(0)
	global_store_dword v[1:2], v6, off offset:48
	global_load_dword v6, v[3:4], off offset:56
	s_waitcnt vmcnt(0)
	global_store_dword v[1:2], v6, off offset:52
	global_load_dword v6, v[3:4], off offset:60
	s_waitcnt vmcnt(0)
	global_store_dword v[1:2], v6, off offset:56
	global_load_dword v6, v[3:4], off offset:64
	s_waitcnt vmcnt(0)
	global_store_dword v[1:2], v6, off offset:60
	global_load_dword v6, v[3:4], off offset:68
	s_waitcnt vmcnt(0)
	global_store_dword v[1:2], v6, off offset:64
	global_load_dword v6, v[3:4], off offset:72
	s_waitcnt vmcnt(0)
	global_store_dword v[1:2], v6, off offset:68
	global_load_dword v6, v[3:4], off offset:76
	s_waitcnt vmcnt(0)
	global_store_dword v[1:2], v6, off offset:72
	global_load_dword v6, v[3:4], off offset:80
	s_waitcnt vmcnt(0)
	global_store_dword v[1:2], v6, off offset:76
	global_load_dword v6, v[3:4], off offset:84
	s_waitcnt vmcnt(0)
	global_store_dword v[1:2], v6, off offset:80
	global_load_dword v6, v[3:4], off offset:88
	s_waitcnt vmcnt(0)
	global_store_dword v[1:2], v6, off offset:84
	global_load_dword v6, v[3:4], off offset:92
	s_waitcnt vmcnt(0)
	global_store_dword v[1:2], v6, off offset:88
	global_load_dword v6, v[3:4], off offset:96
	s_waitcnt vmcnt(0)
	global_store_dword v[1:2], v6, off offset:92
	global_load_dword v6, v[3:4], off offset:100
	s_waitcnt vmcnt(0)
	global_store_dword v[1:2], v6, off offset:96
	global_load_dword v6, v[3:4], off offset:104
	s_waitcnt vmcnt(0)
	global_store_dword v[1:2], v6, off offset:100
	global_load_dword v6, v[3:4], off offset:108
	s_waitcnt vmcnt(0)
	global_store_dword v[1:2], v6, off offset:104
	global_load_dword v6, v[3:4], off offset:112
	s_waitcnt vmcnt(0)
	global_store_dword v[1:2], v6, off offset:108
	global_load_dword v6, v[3:4], off offset:116
	s_waitcnt vmcnt(0)
	global_store_dword v[1:2], v6, off offset:112
	global_load_dword v6, v[3:4], off offset:120
	s_waitcnt vmcnt(0)
	global_store_dword v[1:2], v6, off offset:116
	global_load_dword v6, v[3:4], off offset:124
	s_waitcnt vmcnt(0)
	global_store_dword v[1:2], v6, off offset:120
	global_load_dword v6, v[3:4], off offset:128
	s_waitcnt vmcnt(0)
	global_store_dword v[1:2], v6, off offset:124
	global_load_dword v6, v[3:4], off offset:132
	s_waitcnt vmcnt(0)
	global_store_dword v[1:2], v6, off offset:128
	global_load_dword v6, v[3:4], off offset:136
	s_waitcnt vmcnt(0)
	global_store_dword v[1:2], v6, off offset:132
	global_load_dword v6, v[3:4], off offset:140
	s_waitcnt vmcnt(0)
	global_store_dword v[1:2], v6, off offset:136
	global_load_dword v6, v[3:4], off offset:144
	s_waitcnt vmcnt(0)
	global_store_dword v[1:2], v6, off offset:140
	global_load_dword v6, v[3:4], off offset:148
	s_waitcnt vmcnt(0)
	global_store_dword v[1:2], v6, off offset:144
	global_load_dword v6, v[3:4], off offset:152
	s_waitcnt vmcnt(0)
	global_store_dword v[1:2], v6, off offset:148
	global_load_dword v6, v[3:4], off offset:156
	s_waitcnt vmcnt(0)
	global_store_dword v[1:2], v6, off offset:152
	global_load_dword v6, v[3:4], off offset:160
	s_waitcnt vmcnt(0)
	global_store_dword v[1:2], v6, off offset:156
	global_load_dword v6, v[3:4], off offset:164
	s_waitcnt vmcnt(0)
	global_store_dword v[1:2], v6, off offset:160
	global_load_dword v6, v[3:4], off offset:168
	s_waitcnt vmcnt(0)
	global_store_dword v[1:2], v6, off offset:164
	global_load_dword v6, v[3:4], off offset:172
	s_waitcnt vmcnt(0)
	global_store_dword v[1:2], v6, off offset:168
	global_load_dword v6, v[3:4], off offset:176
	s_waitcnt vmcnt(0)
	global_store_dword v[1:2], v6, off offset:172
	global_load_dword v6, v[3:4], off offset:180
	s_waitcnt vmcnt(0)
	global_store_dword v[1:2], v6, off offset:176
	global_load_dword v6, v[3:4], off offset:184
	s_waitcnt vmcnt(0)
	global_store_dword v[1:2], v6, off offset:180
	global_load_dword v6, v[3:4], off offset:188
	s_waitcnt vmcnt(0)
	global_store_dword v[1:2], v6, off offset:184
	global_load_dword v6, v[3:4], off offset:192
	s_waitcnt vmcnt(0)
	global_store_dword v[1:2], v6, off offset:188
	global_load_dword v6, v[3:4], off offset:196
	s_waitcnt vmcnt(0)
	global_store_dword v[1:2], v6, off offset:192
	global_load_dword v6, v[3:4], off offset:200
	s_waitcnt vmcnt(0)
	global_store_dword v[1:2], v6, off offset:196
	global_load_dword v6, v[3:4], off offset:204
	s_waitcnt vmcnt(0)
	global_store_dword v[1:2], v6, off offset:200
	global_load_dword v6, v[3:4], off offset:208
	s_waitcnt vmcnt(0)
	global_store_dword v[1:2], v6, off offset:204
	global_load_dword v6, v[3:4], off offset:212
	s_waitcnt vmcnt(0)
	global_store_dword v[1:2], v6, off offset:208
	global_load_dword v6, v[3:4], off offset:216
	s_waitcnt vmcnt(0)
	global_store_dword v[1:2], v6, off offset:212
	global_load_dword v6, v[3:4], off offset:220
	s_waitcnt vmcnt(0)
	global_store_dword v[1:2], v6, off offset:216
	global_load_dword v6, v[3:4], off offset:224
	s_waitcnt vmcnt(0)
	global_store_dword v[1:2], v6, off offset:220
	global_load_dword v6, v[3:4], off offset:228
	s_waitcnt vmcnt(0)
	global_store_dword v[1:2], v6, off offset:224
	global_load_dword v6, v[3:4], off offset:232
	s_waitcnt vmcnt(0)
	global_store_dword v[1:2], v6, off offset:228
	global_load_dword v6, v[3:4], off offset:236
	s_waitcnt vmcnt(0)
	global_store_dword v[1:2], v6, off offset:232
	global_load_dword v6, v[3:4], off offset:240
	s_waitcnt vmcnt(0)
	global_store_dword v[1:2], v6, off offset:236
	global_load_dword v6, v[3:4], off offset:244
	s_waitcnt vmcnt(0)
	global_store_dword v[1:2], v6, off offset:240
	global_load_dword v6, v[3:4], off offset:248
	s_waitcnt vmcnt(0)
	global_store_dword v[1:2], v6, off offset:244
	global_load_dword v6, v[3:4], off offset:252
	s_waitcnt vmcnt(0)
	global_store_dword v[1:2], v6, off offset:248
	global_load_dword v6, v[3:4], off offset:256
	s_waitcnt vmcnt(0)
	global_store_dword v[1:2], v6, off offset:252
	global_load_dword v6, v[3:4], off offset:260
	s_waitcnt vmcnt(0)
	global_store_dword v[1:2], v6, off offset:256
	global_load_dword v6, v[3:4], off offset:264
	s_waitcnt vmcnt(0)
	global_store_dword v[1:2], v6, off offset:260
	global_load_dword v6, v[3:4], off offset:268
	s_waitcnt vmcnt(0)
	global_store_dword v[1:2], v6, off offset:264
	global_load_dword v6, v[3:4], off offset:272
	s_waitcnt vmcnt(0)
	global_store_dword v[1:2], v6, off offset:268
	global_load_dword v6, v[3:4], off offset:276
	s_waitcnt vmcnt(0)
	global_store_dword v[1:2], v6, off offset:272
	global_load_dword v6, v[3:4], off offset:280
	s_waitcnt vmcnt(0)
	global_store_dword v[1:2], v6, off offset:276
	global_load_dword v6, v[3:4], off offset:284
	s_waitcnt vmcnt(0)
	global_store_dword v[1:2], v6, off offset:280
	global_load_dword v6, v[3:4], off offset:288
	s_waitcnt vmcnt(0)
	global_store_dword v[1:2], v6, off offset:284
	global_load_dword v6, v[3:4], off offset:292
	s_waitcnt vmcnt(0)
	global_store_dword v[1:2], v6, off offset:288
	global_load_dword v6, v[3:4], off offset:296
	s_waitcnt vmcnt(0)
	global_store_dword v[1:2], v6, off offset:292
	global_load_dword v6, v[3:4], off offset:300
	s_waitcnt vmcnt(0)
	global_store_dword v[1:2], v6, off offset:296
	global_load_dword v6, v[3:4], off offset:304
	s_waitcnt vmcnt(0)
	global_store_dword v[1:2], v6, off offset:300
	global_load_dword v6, v[3:4], off offset:308
	s_waitcnt vmcnt(0)
	global_store_dword v[1:2], v6, off offset:304
	global_load_dword v6, v[3:4], off offset:312
	s_waitcnt vmcnt(0)
	global_store_dword v[1:2], v6, off offset:308
	global_load_dword v6, v[3:4], off offset:316
	s_waitcnt vmcnt(0)
	global_store_dword v[1:2], v6, off offset:312
	global_load_dword v6, v[3:4], off offset:320
	s_waitcnt vmcnt(0)
	global_store_dword v[1:2], v6, off offset:316
	global_load_dword v6, v[3:4], off offset:324
	s_waitcnt vmcnt(0)
	global_store_dword v[1:2], v6, off offset:320
	global_load_dword v6, v[3:4], off offset:328
	s_waitcnt vmcnt(0)
	global_store_dword v[1:2], v6, off offset:324
	global_load_dword v6, v[3:4], off offset:332
	s_waitcnt vmcnt(0)
	global_store_dword v[1:2], v6, off offset:328
	global_load_dword v6, v[3:4], off offset:336
	s_waitcnt vmcnt(0)
	global_store_dword v[1:2], v6, off offset:332
	global_load_dword v6, v[3:4], off offset:340
	s_waitcnt vmcnt(0)
	global_store_dword v[1:2], v6, off offset:336
	global_load_dword v6, v[3:4], off offset:344
	s_waitcnt vmcnt(0)
	global_store_dword v[1:2], v6, off offset:340
	global_load_dword v6, v[3:4], off offset:348
	s_waitcnt vmcnt(0)
	global_store_dword v[1:2], v6, off offset:344
	global_load_dword v6, v[3:4], off offset:352
	s_waitcnt vmcnt(0)
	global_store_dword v[1:2], v6, off offset:348
	global_load_dword v6, v[3:4], off offset:356
	s_waitcnt vmcnt(0)
	global_store_dword v[1:2], v6, off offset:352
	global_load_dword v6, v[3:4], off offset:360
	s_waitcnt vmcnt(0)
	global_store_dword v[1:2], v6, off offset:356
	global_load_dword v6, v[3:4], off offset:364
	s_waitcnt vmcnt(0)
	global_store_dword v[1:2], v6, off offset:360
	global_load_dword v6, v[3:4], off offset:368
	s_waitcnt vmcnt(0)
	global_store_dword v[1:2], v6, off offset:364
	global_load_dword v6, v[3:4], off offset:372
	s_waitcnt vmcnt(0)
	global_store_dword v[1:2], v6, off offset:368
	global_load_dword v6, v[3:4], off offset:376
	s_waitcnt vmcnt(0)
	global_store_dword v[1:2], v6, off offset:372
	global_load_dword v6, v[3:4], off offset:380
	s_waitcnt vmcnt(0)
	global_store_dword v[1:2], v6, off offset:376
	global_load_dword v6, v[3:4], off offset:384
	s_waitcnt vmcnt(0)
	global_store_dword v[1:2], v6, off offset:380
	global_load_dword v6, v[3:4], off offset:388
	s_waitcnt vmcnt(0)
	global_store_dword v[1:2], v6, off offset:384
	global_load_dword v6, v[3:4], off offset:392
	s_waitcnt vmcnt(0)
	global_store_dword v[1:2], v6, off offset:388
	global_load_dword v6, v[3:4], off offset:396
	s_waitcnt vmcnt(0)
	global_store_dword v[1:2], v6, off offset:392
	global_load_dword v6, v[3:4], off offset:400
	s_waitcnt vmcnt(0)
	global_store_dword v[1:2], v6, off offset:396
	global_load_dword v6, v[3:4], off offset:404
	s_waitcnt vmcnt(0)
	global_store_dword v[1:2], v6, off offset:400
	global_load_dword v6, v[3:4], off offset:408
	s_waitcnt vmcnt(0)
	global_store_dword v[1:2], v6, off offset:404
	global_load_dword v6, v[3:4], off offset:412
	s_waitcnt vmcnt(0)
	global_store_dword v[1:2], v6, off offset:408
	global_load_dword v6, v[3:4], off offset:416
	s_waitcnt vmcnt(0)
	global_store_dword v[1:2], v6, off offset:412
	global_load_dword v6, v[3:4], off offset:420
	s_waitcnt vmcnt(0)
	global_store_dword v[1:2], v6, off offset:416
	global_load_dword v6, v[3:4], off offset:424
	s_waitcnt vmcnt(0)
	global_store_dword v[1:2], v6, off offset:420
	global_load_dword v6, v[3:4], off offset:428
	s_waitcnt vmcnt(0)
	global_store_dword v[1:2], v6, off offset:424
	global_load_dword v6, v[3:4], off offset:432
	s_waitcnt vmcnt(0)
	global_store_dword v[1:2], v6, off offset:428
	global_load_dword v6, v[3:4], off offset:436
	s_waitcnt vmcnt(0)
	global_store_dword v[1:2], v6, off offset:432
	global_load_dword v6, v[3:4], off offset:440
	s_waitcnt vmcnt(0)
	global_store_dword v[1:2], v6, off offset:436
	global_load_dword v6, v[3:4], off offset:444
	s_waitcnt vmcnt(0)
	global_store_dword v[1:2], v6, off offset:440
	global_load_dword v6, v[3:4], off offset:448
	s_waitcnt vmcnt(0)
	global_store_dword v[1:2], v6, off offset:444
	global_load_dword v6, v[3:4], off offset:452
	s_waitcnt vmcnt(0)
	global_store_dword v[1:2], v6, off offset:448
	global_load_dword v6, v[3:4], off offset:456
	s_waitcnt vmcnt(0)
	global_store_dword v[1:2], v6, off offset:452
	global_load_dword v6, v[3:4], off offset:460
	s_waitcnt vmcnt(0)
	global_store_dword v[1:2], v6, off offset:456
	global_load_dword v6, v[3:4], off offset:464
	s_waitcnt vmcnt(0)
	global_store_dword v[1:2], v6, off offset:460
	global_load_dword v6, v[3:4], off offset:468
	s_waitcnt vmcnt(0)
	global_store_dword v[1:2], v6, off offset:464
	global_load_dword v6, v[3:4], off offset:472
	s_waitcnt vmcnt(0)
	global_store_dword v[1:2], v6, off offset:468
	global_load_dword v6, v[3:4], off offset:476
	s_waitcnt vmcnt(0)
	global_store_dword v[1:2], v6, off offset:472
	global_load_dword v6, v[3:4], off offset:480
	s_waitcnt vmcnt(0)
	global_store_dword v[1:2], v6, off offset:476
	global_load_dword v6, v[3:4], off offset:484
	s_waitcnt vmcnt(0)
	global_store_dword v[1:2], v6, off offset:480
	global_load_dword v6, v[3:4], off offset:488
	s_waitcnt vmcnt(0)
	global_store_dword v[1:2], v6, off offset:484
	global_load_dword v6, v[3:4], off offset:492
	s_waitcnt vmcnt(0)
	global_store_dword v[1:2], v6, off offset:488
	global_load_dword v6, v[3:4], off offset:496
	s_waitcnt vmcnt(0)
	global_store_dword v[1:2], v6, off offset:492
	global_load_dword v6, v[3:4], off offset:500
	s_waitcnt vmcnt(0)
	global_store_dword v[1:2], v6, off offset:496
	global_load_dword v6, v[3:4], off offset:504
	s_waitcnt vmcnt(0)
	global_store_dword v[1:2], v6, off offset:500
	global_load_dword v4, v[3:4], off offset:508
	v_lshlrev_b32_e32 v3, 2, v0
	ds_write_b32 v3, v5
	s_waitcnt vmcnt(0)
	global_store_dword v[1:2], v4, off offset:504
	s_waitcnt vmcnt(0) lgkmcnt(0)
	s_barrier
	s_and_saveexec_b64 s[0:1], vcc
	s_cbranch_execz .LBB65_2
; %bb.1:
	ds_read_b32 v0, v3 offset:4
	s_waitcnt lgkmcnt(0)
	global_store_dword v[1:2], v0, off offset:508
.LBB65_2:
	s_endpgm
	.section	.rodata,"a",@progbits
	.p2align	6, 0x0
	.amdhsa_kernel _Z19shuffle_down_kernelILj256ELj128EiEvPT1_S1_
		.amdhsa_group_segment_fixed_size 1024
		.amdhsa_private_segment_fixed_size 0
		.amdhsa_kernarg_size 16
		.amdhsa_user_sgpr_count 6
		.amdhsa_user_sgpr_private_segment_buffer 1
		.amdhsa_user_sgpr_dispatch_ptr 0
		.amdhsa_user_sgpr_queue_ptr 0
		.amdhsa_user_sgpr_kernarg_segment_ptr 1
		.amdhsa_user_sgpr_dispatch_id 0
		.amdhsa_user_sgpr_flat_scratch_init 0
		.amdhsa_user_sgpr_private_segment_size 0
		.amdhsa_uses_dynamic_stack 0
		.amdhsa_system_sgpr_private_segment_wavefront_offset 0
		.amdhsa_system_sgpr_workgroup_id_x 1
		.amdhsa_system_sgpr_workgroup_id_y 0
		.amdhsa_system_sgpr_workgroup_id_z 0
		.amdhsa_system_sgpr_workgroup_info 0
		.amdhsa_system_vgpr_workitem_id 0
		.amdhsa_next_free_vgpr 8
		.amdhsa_next_free_sgpr 7
		.amdhsa_reserve_vcc 1
		.amdhsa_reserve_flat_scratch 0
		.amdhsa_float_round_mode_32 0
		.amdhsa_float_round_mode_16_64 0
		.amdhsa_float_denorm_mode_32 3
		.amdhsa_float_denorm_mode_16_64 3
		.amdhsa_dx10_clamp 1
		.amdhsa_ieee_mode 1
		.amdhsa_fp16_overflow 0
		.amdhsa_exception_fp_ieee_invalid_op 0
		.amdhsa_exception_fp_denorm_src 0
		.amdhsa_exception_fp_ieee_div_zero 0
		.amdhsa_exception_fp_ieee_overflow 0
		.amdhsa_exception_fp_ieee_underflow 0
		.amdhsa_exception_fp_ieee_inexact 0
		.amdhsa_exception_int_div_zero 0
	.end_amdhsa_kernel
	.section	.text._Z19shuffle_down_kernelILj256ELj128EiEvPT1_S1_,"axG",@progbits,_Z19shuffle_down_kernelILj256ELj128EiEvPT1_S1_,comdat
.Lfunc_end65:
	.size	_Z19shuffle_down_kernelILj256ELj128EiEvPT1_S1_, .Lfunc_end65-_Z19shuffle_down_kernelILj256ELj128EiEvPT1_S1_
                                        ; -- End function
	.set _Z19shuffle_down_kernelILj256ELj128EiEvPT1_S1_.num_vgpr, 8
	.set _Z19shuffle_down_kernelILj256ELj128EiEvPT1_S1_.num_agpr, 0
	.set _Z19shuffle_down_kernelILj256ELj128EiEvPT1_S1_.numbered_sgpr, 7
	.set _Z19shuffle_down_kernelILj256ELj128EiEvPT1_S1_.num_named_barrier, 0
	.set _Z19shuffle_down_kernelILj256ELj128EiEvPT1_S1_.private_seg_size, 0
	.set _Z19shuffle_down_kernelILj256ELj128EiEvPT1_S1_.uses_vcc, 1
	.set _Z19shuffle_down_kernelILj256ELj128EiEvPT1_S1_.uses_flat_scratch, 0
	.set _Z19shuffle_down_kernelILj256ELj128EiEvPT1_S1_.has_dyn_sized_stack, 0
	.set _Z19shuffle_down_kernelILj256ELj128EiEvPT1_S1_.has_recursion, 0
	.set _Z19shuffle_down_kernelILj256ELj128EiEvPT1_S1_.has_indirect_call, 0
	.section	.AMDGPU.csdata,"",@progbits
; Kernel info:
; codeLenInByte = 2660
; TotalNumSgprs: 11
; NumVgprs: 8
; ScratchSize: 0
; MemoryBound: 1
; FloatMode: 240
; IeeeMode: 1
; LDSByteSize: 1024 bytes/workgroup (compile time only)
; SGPRBlocks: 1
; VGPRBlocks: 1
; NumSGPRsForWavesPerEU: 11
; NumVGPRsForWavesPerEU: 8
; Occupancy: 10
; WaveLimiterHint : 1
; COMPUTE_PGM_RSRC2:SCRATCH_EN: 0
; COMPUTE_PGM_RSRC2:USER_SGPR: 6
; COMPUTE_PGM_RSRC2:TRAP_HANDLER: 0
; COMPUTE_PGM_RSRC2:TGID_X_EN: 1
; COMPUTE_PGM_RSRC2:TGID_Y_EN: 0
; COMPUTE_PGM_RSRC2:TGID_Z_EN: 0
; COMPUTE_PGM_RSRC2:TIDIG_COMP_CNT: 0
	.section	.text._Z19shuffle_down_kernelILj128ELj128EiEvPT1_S1_,"axG",@progbits,_Z19shuffle_down_kernelILj128ELj128EiEvPT1_S1_,comdat
	.protected	_Z19shuffle_down_kernelILj128ELj128EiEvPT1_S1_ ; -- Begin function _Z19shuffle_down_kernelILj128ELj128EiEvPT1_S1_
	.globl	_Z19shuffle_down_kernelILj128ELj128EiEvPT1_S1_
	.p2align	8
	.type	_Z19shuffle_down_kernelILj128ELj128EiEvPT1_S1_,@function
_Z19shuffle_down_kernelILj128ELj128EiEvPT1_S1_: ; @_Z19shuffle_down_kernelILj128ELj128EiEvPT1_S1_
; %bb.0:
	s_load_dwordx4 s[0:3], s[4:5], 0x0
	v_lshlrev_b32_e32 v1, 7, v0
	v_lshl_or_b32 v1, s6, 14, v1
	v_mov_b32_e32 v2, 0
	v_lshlrev_b64 v[1:2], 2, v[1:2]
	s_waitcnt lgkmcnt(0)
	v_mov_b32_e32 v4, s1
	v_add_co_u32_e32 v3, vcc, s0, v1
	v_addc_co_u32_e32 v4, vcc, v4, v2, vcc
	global_load_dwordx2 v[5:6], v[3:4], off
	v_mov_b32_e32 v7, s3
	v_add_co_u32_e32 v1, vcc, s2, v1
	v_addc_co_u32_e32 v2, vcc, v7, v2, vcc
	s_movk_i32 s0, 0x7f
	v_cmp_gt_u32_e32 vcc, s0, v0
	s_waitcnt vmcnt(0)
	global_store_dword v[1:2], v6, off
	global_load_dword v6, v[3:4], off offset:8
	s_waitcnt vmcnt(0)
	global_store_dword v[1:2], v6, off offset:4
	global_load_dword v6, v[3:4], off offset:12
	s_waitcnt vmcnt(0)
	global_store_dword v[1:2], v6, off offset:8
	;; [unrolled: 3-line block ×125, first 2 shown]
	global_load_dword v4, v[3:4], off offset:508
	v_lshlrev_b32_e32 v3, 2, v0
	ds_write_b32 v3, v5
	s_waitcnt vmcnt(0)
	global_store_dword v[1:2], v4, off offset:504
	s_waitcnt vmcnt(0) lgkmcnt(0)
	s_barrier
	s_and_saveexec_b64 s[0:1], vcc
	s_cbranch_execz .LBB66_2
; %bb.1:
	ds_read_b32 v0, v3 offset:4
	s_waitcnt lgkmcnt(0)
	global_store_dword v[1:2], v0, off offset:508
.LBB66_2:
	s_endpgm
	.section	.rodata,"a",@progbits
	.p2align	6, 0x0
	.amdhsa_kernel _Z19shuffle_down_kernelILj128ELj128EiEvPT1_S1_
		.amdhsa_group_segment_fixed_size 512
		.amdhsa_private_segment_fixed_size 0
		.amdhsa_kernarg_size 16
		.amdhsa_user_sgpr_count 6
		.amdhsa_user_sgpr_private_segment_buffer 1
		.amdhsa_user_sgpr_dispatch_ptr 0
		.amdhsa_user_sgpr_queue_ptr 0
		.amdhsa_user_sgpr_kernarg_segment_ptr 1
		.amdhsa_user_sgpr_dispatch_id 0
		.amdhsa_user_sgpr_flat_scratch_init 0
		.amdhsa_user_sgpr_private_segment_size 0
		.amdhsa_uses_dynamic_stack 0
		.amdhsa_system_sgpr_private_segment_wavefront_offset 0
		.amdhsa_system_sgpr_workgroup_id_x 1
		.amdhsa_system_sgpr_workgroup_id_y 0
		.amdhsa_system_sgpr_workgroup_id_z 0
		.amdhsa_system_sgpr_workgroup_info 0
		.amdhsa_system_vgpr_workitem_id 0
		.amdhsa_next_free_vgpr 8
		.amdhsa_next_free_sgpr 7
		.amdhsa_reserve_vcc 1
		.amdhsa_reserve_flat_scratch 0
		.amdhsa_float_round_mode_32 0
		.amdhsa_float_round_mode_16_64 0
		.amdhsa_float_denorm_mode_32 3
		.amdhsa_float_denorm_mode_16_64 3
		.amdhsa_dx10_clamp 1
		.amdhsa_ieee_mode 1
		.amdhsa_fp16_overflow 0
		.amdhsa_exception_fp_ieee_invalid_op 0
		.amdhsa_exception_fp_denorm_src 0
		.amdhsa_exception_fp_ieee_div_zero 0
		.amdhsa_exception_fp_ieee_overflow 0
		.amdhsa_exception_fp_ieee_underflow 0
		.amdhsa_exception_fp_ieee_inexact 0
		.amdhsa_exception_int_div_zero 0
	.end_amdhsa_kernel
	.section	.text._Z19shuffle_down_kernelILj128ELj128EiEvPT1_S1_,"axG",@progbits,_Z19shuffle_down_kernelILj128ELj128EiEvPT1_S1_,comdat
.Lfunc_end66:
	.size	_Z19shuffle_down_kernelILj128ELj128EiEvPT1_S1_, .Lfunc_end66-_Z19shuffle_down_kernelILj128ELj128EiEvPT1_S1_
                                        ; -- End function
	.set _Z19shuffle_down_kernelILj128ELj128EiEvPT1_S1_.num_vgpr, 8
	.set _Z19shuffle_down_kernelILj128ELj128EiEvPT1_S1_.num_agpr, 0
	.set _Z19shuffle_down_kernelILj128ELj128EiEvPT1_S1_.numbered_sgpr, 7
	.set _Z19shuffle_down_kernelILj128ELj128EiEvPT1_S1_.num_named_barrier, 0
	.set _Z19shuffle_down_kernelILj128ELj128EiEvPT1_S1_.private_seg_size, 0
	.set _Z19shuffle_down_kernelILj128ELj128EiEvPT1_S1_.uses_vcc, 1
	.set _Z19shuffle_down_kernelILj128ELj128EiEvPT1_S1_.uses_flat_scratch, 0
	.set _Z19shuffle_down_kernelILj128ELj128EiEvPT1_S1_.has_dyn_sized_stack, 0
	.set _Z19shuffle_down_kernelILj128ELj128EiEvPT1_S1_.has_recursion, 0
	.set _Z19shuffle_down_kernelILj128ELj128EiEvPT1_S1_.has_indirect_call, 0
	.section	.AMDGPU.csdata,"",@progbits
; Kernel info:
; codeLenInByte = 2660
; TotalNumSgprs: 11
; NumVgprs: 8
; ScratchSize: 0
; MemoryBound: 1
; FloatMode: 240
; IeeeMode: 1
; LDSByteSize: 512 bytes/workgroup (compile time only)
; SGPRBlocks: 1
; VGPRBlocks: 1
; NumSGPRsForWavesPerEU: 11
; NumVGPRsForWavesPerEU: 8
; Occupancy: 10
; WaveLimiterHint : 1
; COMPUTE_PGM_RSRC2:SCRATCH_EN: 0
; COMPUTE_PGM_RSRC2:USER_SGPR: 6
; COMPUTE_PGM_RSRC2:TRAP_HANDLER: 0
; COMPUTE_PGM_RSRC2:TGID_X_EN: 1
; COMPUTE_PGM_RSRC2:TGID_Y_EN: 0
; COMPUTE_PGM_RSRC2:TGID_Z_EN: 0
; COMPUTE_PGM_RSRC2:TIDIG_COMP_CNT: 0
	.section	.text._Z19shuffle_down_kernelILj64ELj128EiEvPT1_S1_,"axG",@progbits,_Z19shuffle_down_kernelILj64ELj128EiEvPT1_S1_,comdat
	.protected	_Z19shuffle_down_kernelILj64ELj128EiEvPT1_S1_ ; -- Begin function _Z19shuffle_down_kernelILj64ELj128EiEvPT1_S1_
	.globl	_Z19shuffle_down_kernelILj64ELj128EiEvPT1_S1_
	.p2align	8
	.type	_Z19shuffle_down_kernelILj64ELj128EiEvPT1_S1_,@function
_Z19shuffle_down_kernelILj64ELj128EiEvPT1_S1_: ; @_Z19shuffle_down_kernelILj64ELj128EiEvPT1_S1_
; %bb.0:
	s_load_dwordx4 s[0:3], s[4:5], 0x0
	v_lshlrev_b32_e32 v1, 7, v0
	v_lshl_or_b32 v1, s6, 13, v1
	v_mov_b32_e32 v2, 0
	v_lshlrev_b64 v[1:2], 2, v[1:2]
	s_waitcnt lgkmcnt(0)
	v_mov_b32_e32 v4, s1
	v_add_co_u32_e32 v3, vcc, s0, v1
	v_addc_co_u32_e32 v4, vcc, v4, v2, vcc
	global_load_dwordx2 v[5:6], v[3:4], off
	v_mov_b32_e32 v7, s3
	v_add_co_u32_e32 v1, vcc, s2, v1
	v_addc_co_u32_e32 v2, vcc, v7, v2, vcc
	v_cmp_gt_u32_e32 vcc, 63, v0
	s_waitcnt vmcnt(0)
	global_store_dword v[1:2], v6, off
	global_load_dword v6, v[3:4], off offset:8
	s_waitcnt vmcnt(0)
	global_store_dword v[1:2], v6, off offset:4
	global_load_dword v6, v[3:4], off offset:12
	s_waitcnt vmcnt(0)
	global_store_dword v[1:2], v6, off offset:8
	global_load_dword v6, v[3:4], off offset:16
	s_waitcnt vmcnt(0)
	global_store_dword v[1:2], v6, off offset:12
	global_load_dword v6, v[3:4], off offset:20
	s_waitcnt vmcnt(0)
	global_store_dword v[1:2], v6, off offset:16
	global_load_dword v6, v[3:4], off offset:24
	s_waitcnt vmcnt(0)
	global_store_dword v[1:2], v6, off offset:20
	global_load_dword v6, v[3:4], off offset:28
	s_waitcnt vmcnt(0)
	global_store_dword v[1:2], v6, off offset:24
	global_load_dword v6, v[3:4], off offset:32
	s_waitcnt vmcnt(0)
	global_store_dword v[1:2], v6, off offset:28
	global_load_dword v6, v[3:4], off offset:36
	s_waitcnt vmcnt(0)
	global_store_dword v[1:2], v6, off offset:32
	global_load_dword v6, v[3:4], off offset:40
	s_waitcnt vmcnt(0)
	global_store_dword v[1:2], v6, off offset:36
	global_load_dword v6, v[3:4], off offset:44
	s_waitcnt vmcnt(0)
	global_store_dword v[1:2], v6, off offset:40
	global_load_dword v6, v[3:4], off offset:48
	s_waitcnt vmcnt(0)
	global_store_dword v[1:2], v6, off offset:44
	global_load_dword v6, v[3:4], off offset:52
	s_waitcnt vmcnt(0)
	global_store_dword v[1:2], v6, off offset:48
	global_load_dword v6, v[3:4], off offset:56
	s_waitcnt vmcnt(0)
	global_store_dword v[1:2], v6, off offset:52
	global_load_dword v6, v[3:4], off offset:60
	s_waitcnt vmcnt(0)
	global_store_dword v[1:2], v6, off offset:56
	global_load_dword v6, v[3:4], off offset:64
	s_waitcnt vmcnt(0)
	global_store_dword v[1:2], v6, off offset:60
	global_load_dword v6, v[3:4], off offset:68
	s_waitcnt vmcnt(0)
	global_store_dword v[1:2], v6, off offset:64
	global_load_dword v6, v[3:4], off offset:72
	s_waitcnt vmcnt(0)
	global_store_dword v[1:2], v6, off offset:68
	global_load_dword v6, v[3:4], off offset:76
	s_waitcnt vmcnt(0)
	global_store_dword v[1:2], v6, off offset:72
	global_load_dword v6, v[3:4], off offset:80
	s_waitcnt vmcnt(0)
	global_store_dword v[1:2], v6, off offset:76
	global_load_dword v6, v[3:4], off offset:84
	s_waitcnt vmcnt(0)
	global_store_dword v[1:2], v6, off offset:80
	global_load_dword v6, v[3:4], off offset:88
	s_waitcnt vmcnt(0)
	global_store_dword v[1:2], v6, off offset:84
	global_load_dword v6, v[3:4], off offset:92
	s_waitcnt vmcnt(0)
	global_store_dword v[1:2], v6, off offset:88
	global_load_dword v6, v[3:4], off offset:96
	s_waitcnt vmcnt(0)
	global_store_dword v[1:2], v6, off offset:92
	global_load_dword v6, v[3:4], off offset:100
	s_waitcnt vmcnt(0)
	global_store_dword v[1:2], v6, off offset:96
	global_load_dword v6, v[3:4], off offset:104
	s_waitcnt vmcnt(0)
	global_store_dword v[1:2], v6, off offset:100
	global_load_dword v6, v[3:4], off offset:108
	s_waitcnt vmcnt(0)
	global_store_dword v[1:2], v6, off offset:104
	global_load_dword v6, v[3:4], off offset:112
	s_waitcnt vmcnt(0)
	global_store_dword v[1:2], v6, off offset:108
	global_load_dword v6, v[3:4], off offset:116
	s_waitcnt vmcnt(0)
	global_store_dword v[1:2], v6, off offset:112
	global_load_dword v6, v[3:4], off offset:120
	s_waitcnt vmcnt(0)
	global_store_dword v[1:2], v6, off offset:116
	global_load_dword v6, v[3:4], off offset:124
	s_waitcnt vmcnt(0)
	global_store_dword v[1:2], v6, off offset:120
	global_load_dword v6, v[3:4], off offset:128
	s_waitcnt vmcnt(0)
	global_store_dword v[1:2], v6, off offset:124
	global_load_dword v6, v[3:4], off offset:132
	s_waitcnt vmcnt(0)
	global_store_dword v[1:2], v6, off offset:128
	global_load_dword v6, v[3:4], off offset:136
	s_waitcnt vmcnt(0)
	global_store_dword v[1:2], v6, off offset:132
	global_load_dword v6, v[3:4], off offset:140
	s_waitcnt vmcnt(0)
	global_store_dword v[1:2], v6, off offset:136
	global_load_dword v6, v[3:4], off offset:144
	s_waitcnt vmcnt(0)
	global_store_dword v[1:2], v6, off offset:140
	global_load_dword v6, v[3:4], off offset:148
	s_waitcnt vmcnt(0)
	global_store_dword v[1:2], v6, off offset:144
	global_load_dword v6, v[3:4], off offset:152
	s_waitcnt vmcnt(0)
	global_store_dword v[1:2], v6, off offset:148
	global_load_dword v6, v[3:4], off offset:156
	s_waitcnt vmcnt(0)
	global_store_dword v[1:2], v6, off offset:152
	global_load_dword v6, v[3:4], off offset:160
	s_waitcnt vmcnt(0)
	global_store_dword v[1:2], v6, off offset:156
	global_load_dword v6, v[3:4], off offset:164
	s_waitcnt vmcnt(0)
	global_store_dword v[1:2], v6, off offset:160
	global_load_dword v6, v[3:4], off offset:168
	s_waitcnt vmcnt(0)
	global_store_dword v[1:2], v6, off offset:164
	global_load_dword v6, v[3:4], off offset:172
	s_waitcnt vmcnt(0)
	global_store_dword v[1:2], v6, off offset:168
	global_load_dword v6, v[3:4], off offset:176
	s_waitcnt vmcnt(0)
	global_store_dword v[1:2], v6, off offset:172
	global_load_dword v6, v[3:4], off offset:180
	s_waitcnt vmcnt(0)
	global_store_dword v[1:2], v6, off offset:176
	global_load_dword v6, v[3:4], off offset:184
	s_waitcnt vmcnt(0)
	global_store_dword v[1:2], v6, off offset:180
	global_load_dword v6, v[3:4], off offset:188
	s_waitcnt vmcnt(0)
	global_store_dword v[1:2], v6, off offset:184
	global_load_dword v6, v[3:4], off offset:192
	s_waitcnt vmcnt(0)
	global_store_dword v[1:2], v6, off offset:188
	global_load_dword v6, v[3:4], off offset:196
	s_waitcnt vmcnt(0)
	global_store_dword v[1:2], v6, off offset:192
	global_load_dword v6, v[3:4], off offset:200
	s_waitcnt vmcnt(0)
	global_store_dword v[1:2], v6, off offset:196
	global_load_dword v6, v[3:4], off offset:204
	s_waitcnt vmcnt(0)
	global_store_dword v[1:2], v6, off offset:200
	global_load_dword v6, v[3:4], off offset:208
	s_waitcnt vmcnt(0)
	global_store_dword v[1:2], v6, off offset:204
	global_load_dword v6, v[3:4], off offset:212
	s_waitcnt vmcnt(0)
	global_store_dword v[1:2], v6, off offset:208
	global_load_dword v6, v[3:4], off offset:216
	s_waitcnt vmcnt(0)
	global_store_dword v[1:2], v6, off offset:212
	global_load_dword v6, v[3:4], off offset:220
	s_waitcnt vmcnt(0)
	global_store_dword v[1:2], v6, off offset:216
	global_load_dword v6, v[3:4], off offset:224
	s_waitcnt vmcnt(0)
	global_store_dword v[1:2], v6, off offset:220
	global_load_dword v6, v[3:4], off offset:228
	s_waitcnt vmcnt(0)
	global_store_dword v[1:2], v6, off offset:224
	global_load_dword v6, v[3:4], off offset:232
	s_waitcnt vmcnt(0)
	global_store_dword v[1:2], v6, off offset:228
	global_load_dword v6, v[3:4], off offset:236
	s_waitcnt vmcnt(0)
	global_store_dword v[1:2], v6, off offset:232
	global_load_dword v6, v[3:4], off offset:240
	s_waitcnt vmcnt(0)
	global_store_dword v[1:2], v6, off offset:236
	global_load_dword v6, v[3:4], off offset:244
	s_waitcnt vmcnt(0)
	global_store_dword v[1:2], v6, off offset:240
	global_load_dword v6, v[3:4], off offset:248
	s_waitcnt vmcnt(0)
	global_store_dword v[1:2], v6, off offset:244
	global_load_dword v6, v[3:4], off offset:252
	s_waitcnt vmcnt(0)
	global_store_dword v[1:2], v6, off offset:248
	global_load_dword v6, v[3:4], off offset:256
	s_waitcnt vmcnt(0)
	global_store_dword v[1:2], v6, off offset:252
	global_load_dword v6, v[3:4], off offset:260
	s_waitcnt vmcnt(0)
	global_store_dword v[1:2], v6, off offset:256
	global_load_dword v6, v[3:4], off offset:264
	s_waitcnt vmcnt(0)
	global_store_dword v[1:2], v6, off offset:260
	global_load_dword v6, v[3:4], off offset:268
	s_waitcnt vmcnt(0)
	global_store_dword v[1:2], v6, off offset:264
	global_load_dword v6, v[3:4], off offset:272
	s_waitcnt vmcnt(0)
	global_store_dword v[1:2], v6, off offset:268
	global_load_dword v6, v[3:4], off offset:276
	s_waitcnt vmcnt(0)
	global_store_dword v[1:2], v6, off offset:272
	global_load_dword v6, v[3:4], off offset:280
	s_waitcnt vmcnt(0)
	global_store_dword v[1:2], v6, off offset:276
	global_load_dword v6, v[3:4], off offset:284
	s_waitcnt vmcnt(0)
	global_store_dword v[1:2], v6, off offset:280
	global_load_dword v6, v[3:4], off offset:288
	s_waitcnt vmcnt(0)
	global_store_dword v[1:2], v6, off offset:284
	global_load_dword v6, v[3:4], off offset:292
	s_waitcnt vmcnt(0)
	global_store_dword v[1:2], v6, off offset:288
	global_load_dword v6, v[3:4], off offset:296
	s_waitcnt vmcnt(0)
	global_store_dword v[1:2], v6, off offset:292
	global_load_dword v6, v[3:4], off offset:300
	s_waitcnt vmcnt(0)
	global_store_dword v[1:2], v6, off offset:296
	global_load_dword v6, v[3:4], off offset:304
	s_waitcnt vmcnt(0)
	global_store_dword v[1:2], v6, off offset:300
	global_load_dword v6, v[3:4], off offset:308
	s_waitcnt vmcnt(0)
	global_store_dword v[1:2], v6, off offset:304
	global_load_dword v6, v[3:4], off offset:312
	s_waitcnt vmcnt(0)
	global_store_dword v[1:2], v6, off offset:308
	global_load_dword v6, v[3:4], off offset:316
	s_waitcnt vmcnt(0)
	global_store_dword v[1:2], v6, off offset:312
	global_load_dword v6, v[3:4], off offset:320
	s_waitcnt vmcnt(0)
	global_store_dword v[1:2], v6, off offset:316
	global_load_dword v6, v[3:4], off offset:324
	s_waitcnt vmcnt(0)
	global_store_dword v[1:2], v6, off offset:320
	global_load_dword v6, v[3:4], off offset:328
	s_waitcnt vmcnt(0)
	global_store_dword v[1:2], v6, off offset:324
	global_load_dword v6, v[3:4], off offset:332
	s_waitcnt vmcnt(0)
	global_store_dword v[1:2], v6, off offset:328
	global_load_dword v6, v[3:4], off offset:336
	s_waitcnt vmcnt(0)
	global_store_dword v[1:2], v6, off offset:332
	global_load_dword v6, v[3:4], off offset:340
	s_waitcnt vmcnt(0)
	global_store_dword v[1:2], v6, off offset:336
	global_load_dword v6, v[3:4], off offset:344
	s_waitcnt vmcnt(0)
	global_store_dword v[1:2], v6, off offset:340
	global_load_dword v6, v[3:4], off offset:348
	s_waitcnt vmcnt(0)
	global_store_dword v[1:2], v6, off offset:344
	global_load_dword v6, v[3:4], off offset:352
	s_waitcnt vmcnt(0)
	global_store_dword v[1:2], v6, off offset:348
	global_load_dword v6, v[3:4], off offset:356
	s_waitcnt vmcnt(0)
	global_store_dword v[1:2], v6, off offset:352
	global_load_dword v6, v[3:4], off offset:360
	s_waitcnt vmcnt(0)
	global_store_dword v[1:2], v6, off offset:356
	global_load_dword v6, v[3:4], off offset:364
	s_waitcnt vmcnt(0)
	global_store_dword v[1:2], v6, off offset:360
	global_load_dword v6, v[3:4], off offset:368
	s_waitcnt vmcnt(0)
	global_store_dword v[1:2], v6, off offset:364
	global_load_dword v6, v[3:4], off offset:372
	s_waitcnt vmcnt(0)
	global_store_dword v[1:2], v6, off offset:368
	global_load_dword v6, v[3:4], off offset:376
	s_waitcnt vmcnt(0)
	global_store_dword v[1:2], v6, off offset:372
	global_load_dword v6, v[3:4], off offset:380
	s_waitcnt vmcnt(0)
	global_store_dword v[1:2], v6, off offset:376
	global_load_dword v6, v[3:4], off offset:384
	s_waitcnt vmcnt(0)
	global_store_dword v[1:2], v6, off offset:380
	global_load_dword v6, v[3:4], off offset:388
	s_waitcnt vmcnt(0)
	global_store_dword v[1:2], v6, off offset:384
	global_load_dword v6, v[3:4], off offset:392
	s_waitcnt vmcnt(0)
	global_store_dword v[1:2], v6, off offset:388
	global_load_dword v6, v[3:4], off offset:396
	s_waitcnt vmcnt(0)
	global_store_dword v[1:2], v6, off offset:392
	global_load_dword v6, v[3:4], off offset:400
	s_waitcnt vmcnt(0)
	global_store_dword v[1:2], v6, off offset:396
	global_load_dword v6, v[3:4], off offset:404
	s_waitcnt vmcnt(0)
	global_store_dword v[1:2], v6, off offset:400
	global_load_dword v6, v[3:4], off offset:408
	s_waitcnt vmcnt(0)
	global_store_dword v[1:2], v6, off offset:404
	global_load_dword v6, v[3:4], off offset:412
	s_waitcnt vmcnt(0)
	global_store_dword v[1:2], v6, off offset:408
	global_load_dword v6, v[3:4], off offset:416
	s_waitcnt vmcnt(0)
	global_store_dword v[1:2], v6, off offset:412
	global_load_dword v6, v[3:4], off offset:420
	s_waitcnt vmcnt(0)
	global_store_dword v[1:2], v6, off offset:416
	global_load_dword v6, v[3:4], off offset:424
	s_waitcnt vmcnt(0)
	global_store_dword v[1:2], v6, off offset:420
	global_load_dword v6, v[3:4], off offset:428
	s_waitcnt vmcnt(0)
	global_store_dword v[1:2], v6, off offset:424
	global_load_dword v6, v[3:4], off offset:432
	s_waitcnt vmcnt(0)
	global_store_dword v[1:2], v6, off offset:428
	global_load_dword v6, v[3:4], off offset:436
	s_waitcnt vmcnt(0)
	global_store_dword v[1:2], v6, off offset:432
	global_load_dword v6, v[3:4], off offset:440
	s_waitcnt vmcnt(0)
	global_store_dword v[1:2], v6, off offset:436
	global_load_dword v6, v[3:4], off offset:444
	s_waitcnt vmcnt(0)
	global_store_dword v[1:2], v6, off offset:440
	global_load_dword v6, v[3:4], off offset:448
	s_waitcnt vmcnt(0)
	global_store_dword v[1:2], v6, off offset:444
	global_load_dword v6, v[3:4], off offset:452
	s_waitcnt vmcnt(0)
	global_store_dword v[1:2], v6, off offset:448
	global_load_dword v6, v[3:4], off offset:456
	s_waitcnt vmcnt(0)
	global_store_dword v[1:2], v6, off offset:452
	global_load_dword v6, v[3:4], off offset:460
	s_waitcnt vmcnt(0)
	global_store_dword v[1:2], v6, off offset:456
	global_load_dword v6, v[3:4], off offset:464
	s_waitcnt vmcnt(0)
	global_store_dword v[1:2], v6, off offset:460
	global_load_dword v6, v[3:4], off offset:468
	s_waitcnt vmcnt(0)
	global_store_dword v[1:2], v6, off offset:464
	global_load_dword v6, v[3:4], off offset:472
	s_waitcnt vmcnt(0)
	global_store_dword v[1:2], v6, off offset:468
	global_load_dword v6, v[3:4], off offset:476
	s_waitcnt vmcnt(0)
	global_store_dword v[1:2], v6, off offset:472
	global_load_dword v6, v[3:4], off offset:480
	s_waitcnt vmcnt(0)
	global_store_dword v[1:2], v6, off offset:476
	global_load_dword v6, v[3:4], off offset:484
	s_waitcnt vmcnt(0)
	global_store_dword v[1:2], v6, off offset:480
	global_load_dword v6, v[3:4], off offset:488
	s_waitcnt vmcnt(0)
	global_store_dword v[1:2], v6, off offset:484
	global_load_dword v6, v[3:4], off offset:492
	s_waitcnt vmcnt(0)
	global_store_dword v[1:2], v6, off offset:488
	global_load_dword v6, v[3:4], off offset:496
	s_waitcnt vmcnt(0)
	global_store_dword v[1:2], v6, off offset:492
	global_load_dword v6, v[3:4], off offset:500
	s_waitcnt vmcnt(0)
	global_store_dword v[1:2], v6, off offset:496
	global_load_dword v6, v[3:4], off offset:504
	s_waitcnt vmcnt(0)
	global_store_dword v[1:2], v6, off offset:500
	global_load_dword v4, v[3:4], off offset:508
	v_lshlrev_b32_e32 v3, 2, v0
	ds_write_b32 v3, v5
	s_waitcnt vmcnt(0)
	global_store_dword v[1:2], v4, off offset:504
	s_waitcnt lgkmcnt(0)
	; wave barrier
	s_and_saveexec_b64 s[0:1], vcc
	s_cbranch_execz .LBB67_2
; %bb.1:
	ds_read_b32 v0, v3 offset:4
	s_waitcnt lgkmcnt(0)
	global_store_dword v[1:2], v0, off offset:508
.LBB67_2:
	s_endpgm
	.section	.rodata,"a",@progbits
	.p2align	6, 0x0
	.amdhsa_kernel _Z19shuffle_down_kernelILj64ELj128EiEvPT1_S1_
		.amdhsa_group_segment_fixed_size 256
		.amdhsa_private_segment_fixed_size 0
		.amdhsa_kernarg_size 16
		.amdhsa_user_sgpr_count 6
		.amdhsa_user_sgpr_private_segment_buffer 1
		.amdhsa_user_sgpr_dispatch_ptr 0
		.amdhsa_user_sgpr_queue_ptr 0
		.amdhsa_user_sgpr_kernarg_segment_ptr 1
		.amdhsa_user_sgpr_dispatch_id 0
		.amdhsa_user_sgpr_flat_scratch_init 0
		.amdhsa_user_sgpr_private_segment_size 0
		.amdhsa_uses_dynamic_stack 0
		.amdhsa_system_sgpr_private_segment_wavefront_offset 0
		.amdhsa_system_sgpr_workgroup_id_x 1
		.amdhsa_system_sgpr_workgroup_id_y 0
		.amdhsa_system_sgpr_workgroup_id_z 0
		.amdhsa_system_sgpr_workgroup_info 0
		.amdhsa_system_vgpr_workitem_id 0
		.amdhsa_next_free_vgpr 8
		.amdhsa_next_free_sgpr 7
		.amdhsa_reserve_vcc 1
		.amdhsa_reserve_flat_scratch 0
		.amdhsa_float_round_mode_32 0
		.amdhsa_float_round_mode_16_64 0
		.amdhsa_float_denorm_mode_32 3
		.amdhsa_float_denorm_mode_16_64 3
		.amdhsa_dx10_clamp 1
		.amdhsa_ieee_mode 1
		.amdhsa_fp16_overflow 0
		.amdhsa_exception_fp_ieee_invalid_op 0
		.amdhsa_exception_fp_denorm_src 0
		.amdhsa_exception_fp_ieee_div_zero 0
		.amdhsa_exception_fp_ieee_overflow 0
		.amdhsa_exception_fp_ieee_underflow 0
		.amdhsa_exception_fp_ieee_inexact 0
		.amdhsa_exception_int_div_zero 0
	.end_amdhsa_kernel
	.section	.text._Z19shuffle_down_kernelILj64ELj128EiEvPT1_S1_,"axG",@progbits,_Z19shuffle_down_kernelILj64ELj128EiEvPT1_S1_,comdat
.Lfunc_end67:
	.size	_Z19shuffle_down_kernelILj64ELj128EiEvPT1_S1_, .Lfunc_end67-_Z19shuffle_down_kernelILj64ELj128EiEvPT1_S1_
                                        ; -- End function
	.set _Z19shuffle_down_kernelILj64ELj128EiEvPT1_S1_.num_vgpr, 8
	.set _Z19shuffle_down_kernelILj64ELj128EiEvPT1_S1_.num_agpr, 0
	.set _Z19shuffle_down_kernelILj64ELj128EiEvPT1_S1_.numbered_sgpr, 7
	.set _Z19shuffle_down_kernelILj64ELj128EiEvPT1_S1_.num_named_barrier, 0
	.set _Z19shuffle_down_kernelILj64ELj128EiEvPT1_S1_.private_seg_size, 0
	.set _Z19shuffle_down_kernelILj64ELj128EiEvPT1_S1_.uses_vcc, 1
	.set _Z19shuffle_down_kernelILj64ELj128EiEvPT1_S1_.uses_flat_scratch, 0
	.set _Z19shuffle_down_kernelILj64ELj128EiEvPT1_S1_.has_dyn_sized_stack, 0
	.set _Z19shuffle_down_kernelILj64ELj128EiEvPT1_S1_.has_recursion, 0
	.set _Z19shuffle_down_kernelILj64ELj128EiEvPT1_S1_.has_indirect_call, 0
	.section	.AMDGPU.csdata,"",@progbits
; Kernel info:
; codeLenInByte = 2652
; TotalNumSgprs: 11
; NumVgprs: 8
; ScratchSize: 0
; MemoryBound: 1
; FloatMode: 240
; IeeeMode: 1
; LDSByteSize: 256 bytes/workgroup (compile time only)
; SGPRBlocks: 1
; VGPRBlocks: 1
; NumSGPRsForWavesPerEU: 11
; NumVGPRsForWavesPerEU: 8
; Occupancy: 10
; WaveLimiterHint : 1
; COMPUTE_PGM_RSRC2:SCRATCH_EN: 0
; COMPUTE_PGM_RSRC2:USER_SGPR: 6
; COMPUTE_PGM_RSRC2:TRAP_HANDLER: 0
; COMPUTE_PGM_RSRC2:TGID_X_EN: 1
; COMPUTE_PGM_RSRC2:TGID_Y_EN: 0
; COMPUTE_PGM_RSRC2:TGID_Z_EN: 0
; COMPUTE_PGM_RSRC2:TIDIG_COMP_CNT: 0
	.section	.AMDGPU.gpr_maximums,"",@progbits
	.set amdgpu.max_num_vgpr, 0
	.set amdgpu.max_num_agpr, 0
	.set amdgpu.max_num_sgpr, 0
	.section	.AMDGPU.csdata,"",@progbits
	.type	__hip_cuid_d4e07561d9ab8fc6,@object ; @__hip_cuid_d4e07561d9ab8fc6
	.section	.bss,"aw",@nobits
	.globl	__hip_cuid_d4e07561d9ab8fc6
__hip_cuid_d4e07561d9ab8fc6:
	.byte	0                               ; 0x0
	.size	__hip_cuid_d4e07561d9ab8fc6, 1

	.ident	"AMD clang version 22.0.0git (https://github.com/RadeonOpenCompute/llvm-project roc-7.2.4 26084 f58b06dce1f9c15707c5f808fd002e18c2accf7e)"
	.section	".note.GNU-stack","",@progbits
	.addrsig
	.addrsig_sym __hip_cuid_d4e07561d9ab8fc6
	.amdgpu_metadata
---
amdhsa.kernels:
  - .args:
      - .address_space:  global
        .offset:         0
        .size:           8
        .value_kind:     global_buffer
      - .address_space:  global
        .offset:         8
        .size:           8
        .value_kind:     global_buffer
      - .offset:         16
        .size:           4
        .value_kind:     by_value
    .group_segment_fixed_size: 64
    .kernarg_segment_align: 8
    .kernarg_segment_size: 20
    .language:       OpenCL C
    .language_version:
      - 2
      - 0
    .max_flat_workgroup_size: 32
    .name:           _Z21shuffle_offset_kernelILj32E12hip_bfloat16EvPT0_S2_i
    .private_segment_fixed_size: 0
    .sgpr_count:     12
    .sgpr_spill_count: 0
    .symbol:         _Z21shuffle_offset_kernelILj32E12hip_bfloat16EvPT0_S2_i.kd
    .uniform_work_group_size: 1
    .uses_dynamic_stack: false
    .vgpr_count:     5
    .vgpr_spill_count: 0
    .wavefront_size: 64
  - .args:
      - .address_space:  global
        .offset:         0
        .size:           8
        .value_kind:     global_buffer
      - .address_space:  global
        .offset:         8
        .size:           8
        .value_kind:     global_buffer
      - .offset:         16
        .size:           4
        .value_kind:     by_value
    .group_segment_fixed_size: 64
    .kernarg_segment_align: 8
    .kernarg_segment_size: 20
    .language:       OpenCL C
    .language_version:
      - 2
      - 0
    .max_flat_workgroup_size: 32
    .name:           _Z21shuffle_offset_kernelILj32E6__halfEvPT0_S2_i
    .private_segment_fixed_size: 0
    .sgpr_count:     12
    .sgpr_spill_count: 0
    .symbol:         _Z21shuffle_offset_kernelILj32E6__halfEvPT0_S2_i.kd
    .uniform_work_group_size: 1
    .uses_dynamic_stack: false
    .vgpr_count:     5
    .vgpr_spill_count: 0
    .wavefront_size: 64
  - .args:
      - .address_space:  global
        .offset:         0
        .size:           8
        .value_kind:     global_buffer
      - .address_space:  global
        .offset:         8
        .size:           8
        .value_kind:     global_buffer
      - .offset:         16
        .size:           4
        .value_kind:     by_value
    .group_segment_fixed_size: 128
    .kernarg_segment_align: 8
    .kernarg_segment_size: 20
    .language:       OpenCL C
    .language_version:
      - 2
      - 0
    .max_flat_workgroup_size: 32
    .name:           _Z21shuffle_offset_kernelILj32EfEvPT0_S1_i
    .private_segment_fixed_size: 0
    .sgpr_count:     12
    .sgpr_spill_count: 0
    .symbol:         _Z21shuffle_offset_kernelILj32EfEvPT0_S1_i.kd
    .uniform_work_group_size: 1
    .uses_dynamic_stack: false
    .vgpr_count:     5
    .vgpr_spill_count: 0
    .wavefront_size: 64
  - .args:
      - .address_space:  global
        .offset:         0
        .size:           8
        .value_kind:     global_buffer
      - .address_space:  global
        .offset:         8
        .size:           8
        .value_kind:     global_buffer
      - .offset:         16
        .size:           4
        .value_kind:     by_value
    .group_segment_fixed_size: 3016
    .kernarg_segment_align: 8
    .kernarg_segment_size: 20
    .language:       OpenCL C
    .language_version:
      - 2
      - 0
    .max_flat_workgroup_size: 377
    .name:           _Z21shuffle_offset_kernelILj377ElEvPT0_S1_i
    .private_segment_fixed_size: 0
    .sgpr_count:     12
    .sgpr_spill_count: 0
    .symbol:         _Z21shuffle_offset_kernelILj377ElEvPT0_S1_i.kd
    .uniform_work_group_size: 1
    .uses_dynamic_stack: false
    .vgpr_count:     6
    .vgpr_spill_count: 0
    .wavefront_size: 64
  - .args:
      - .address_space:  global
        .offset:         0
        .size:           8
        .value_kind:     global_buffer
      - .address_space:  global
        .offset:         8
        .size:           8
        .value_kind:     global_buffer
      - .offset:         16
        .size:           4
        .value_kind:     by_value
    .group_segment_fixed_size: 2048
    .kernarg_segment_align: 8
    .kernarg_segment_size: 20
    .language:       OpenCL C
    .language_version:
      - 2
      - 0
    .max_flat_workgroup_size: 256
    .name:           _Z21shuffle_offset_kernelILj256ElEvPT0_S1_i
    .private_segment_fixed_size: 0
    .sgpr_count:     12
    .sgpr_spill_count: 0
    .symbol:         _Z21shuffle_offset_kernelILj256ElEvPT0_S1_i.kd
    .uniform_work_group_size: 1
    .uses_dynamic_stack: false
    .vgpr_count:     6
    .vgpr_spill_count: 0
    .wavefront_size: 64
  - .args:
      - .address_space:  global
        .offset:         0
        .size:           8
        .value_kind:     global_buffer
      - .address_space:  global
        .offset:         8
        .size:           8
        .value_kind:     global_buffer
      - .offset:         16
        .size:           4
        .value_kind:     by_value
    .group_segment_fixed_size: 512
    .kernarg_segment_align: 8
    .kernarg_segment_size: 20
    .language:       OpenCL C
    .language_version:
      - 2
      - 0
    .max_flat_workgroup_size: 64
    .name:           _Z21shuffle_offset_kernelILj64ElEvPT0_S1_i
    .private_segment_fixed_size: 0
    .sgpr_count:     12
    .sgpr_spill_count: 0
    .symbol:         _Z21shuffle_offset_kernelILj64ElEvPT0_S1_i.kd
    .uniform_work_group_size: 1
    .uses_dynamic_stack: false
    .vgpr_count:     6
    .vgpr_spill_count: 0
    .wavefront_size: 64
  - .args:
      - .address_space:  global
        .offset:         0
        .size:           8
        .value_kind:     global_buffer
      - .address_space:  global
        .offset:         8
        .size:           8
        .value_kind:     global_buffer
      - .offset:         16
        .size:           4
        .value_kind:     by_value
    .group_segment_fixed_size: 1508
    .kernarg_segment_align: 8
    .kernarg_segment_size: 20
    .language:       OpenCL C
    .language_version:
      - 2
      - 0
    .max_flat_workgroup_size: 377
    .name:           _Z21shuffle_offset_kernelILj377EjEvPT0_S1_i
    .private_segment_fixed_size: 0
    .sgpr_count:     12
    .sgpr_spill_count: 0
    .symbol:         _Z21shuffle_offset_kernelILj377EjEvPT0_S1_i.kd
    .uniform_work_group_size: 1
    .uses_dynamic_stack: false
    .vgpr_count:     5
    .vgpr_spill_count: 0
    .wavefront_size: 64
  - .args:
      - .address_space:  global
        .offset:         0
        .size:           8
        .value_kind:     global_buffer
      - .address_space:  global
        .offset:         8
        .size:           8
        .value_kind:     global_buffer
      - .offset:         16
        .size:           4
        .value_kind:     by_value
    .group_segment_fixed_size: 1024
    .kernarg_segment_align: 8
    .kernarg_segment_size: 20
    .language:       OpenCL C
    .language_version:
      - 2
      - 0
    .max_flat_workgroup_size: 256
    .name:           _Z21shuffle_offset_kernelILj256EjEvPT0_S1_i
    .private_segment_fixed_size: 0
    .sgpr_count:     12
    .sgpr_spill_count: 0
    .symbol:         _Z21shuffle_offset_kernelILj256EjEvPT0_S1_i.kd
    .uniform_work_group_size: 1
    .uses_dynamic_stack: false
    .vgpr_count:     5
    .vgpr_spill_count: 0
    .wavefront_size: 64
  - .args:
      - .address_space:  global
        .offset:         0
        .size:           8
        .value_kind:     global_buffer
      - .address_space:  global
        .offset:         8
        .size:           8
        .value_kind:     global_buffer
      - .offset:         16
        .size:           4
        .value_kind:     by_value
    .group_segment_fixed_size: 256
    .kernarg_segment_align: 8
    .kernarg_segment_size: 20
    .language:       OpenCL C
    .language_version:
      - 2
      - 0
    .max_flat_workgroup_size: 64
    .name:           _Z21shuffle_offset_kernelILj64EjEvPT0_S1_i
    .private_segment_fixed_size: 0
    .sgpr_count:     12
    .sgpr_spill_count: 0
    .symbol:         _Z21shuffle_offset_kernelILj64EjEvPT0_S1_i.kd
    .uniform_work_group_size: 1
    .uses_dynamic_stack: false
    .vgpr_count:     5
    .vgpr_spill_count: 0
    .wavefront_size: 64
  - .args:
      - .address_space:  global
        .offset:         0
        .size:           8
        .value_kind:     global_buffer
      - .address_space:  global
        .offset:         8
        .size:           8
        .value_kind:     global_buffer
      - .offset:         16
        .size:           4
        .value_kind:     by_value
    .group_segment_fixed_size: 1020
    .kernarg_segment_align: 8
    .kernarg_segment_size: 20
    .language:       OpenCL C
    .language_version:
      - 2
      - 0
    .max_flat_workgroup_size: 255
    .name:           _Z21shuffle_offset_kernelILj255EiEvPT0_S1_i
    .private_segment_fixed_size: 0
    .sgpr_count:     12
    .sgpr_spill_count: 0
    .symbol:         _Z21shuffle_offset_kernelILj255EiEvPT0_S1_i.kd
    .uniform_work_group_size: 1
    .uses_dynamic_stack: false
    .vgpr_count:     5
    .vgpr_spill_count: 0
    .wavefront_size: 64
  - .args:
      - .address_space:  global
        .offset:         0
        .size:           8
        .value_kind:     global_buffer
      - .address_space:  global
        .offset:         8
        .size:           8
        .value_kind:     global_buffer
      - .offset:         16
        .size:           4
        .value_kind:     by_value
    .group_segment_fixed_size: 648
    .kernarg_segment_align: 8
    .kernarg_segment_size: 20
    .language:       OpenCL C
    .language_version:
      - 2
      - 0
    .max_flat_workgroup_size: 162
    .name:           _Z21shuffle_offset_kernelILj162EiEvPT0_S1_i
    .private_segment_fixed_size: 0
    .sgpr_count:     12
    .sgpr_spill_count: 0
    .symbol:         _Z21shuffle_offset_kernelILj162EiEvPT0_S1_i.kd
    .uniform_work_group_size: 1
    .uses_dynamic_stack: false
    .vgpr_count:     5
    .vgpr_spill_count: 0
    .wavefront_size: 64
  - .args:
      - .address_space:  global
        .offset:         0
        .size:           8
        .value_kind:     global_buffer
      - .address_space:  global
        .offset:         8
        .size:           8
        .value_kind:     global_buffer
      - .offset:         16
        .size:           4
        .value_kind:     by_value
    .group_segment_fixed_size: 148
    .kernarg_segment_align: 8
    .kernarg_segment_size: 20
    .language:       OpenCL C
    .language_version:
      - 2
      - 0
    .max_flat_workgroup_size: 37
    .name:           _Z21shuffle_offset_kernelILj37EiEvPT0_S1_i
    .private_segment_fixed_size: 0
    .sgpr_count:     11
    .sgpr_spill_count: 0
    .symbol:         _Z21shuffle_offset_kernelILj37EiEvPT0_S1_i.kd
    .uniform_work_group_size: 1
    .uses_dynamic_stack: false
    .vgpr_count:     5
    .vgpr_spill_count: 0
    .wavefront_size: 64
  - .args:
      - .address_space:  global
        .offset:         0
        .size:           8
        .value_kind:     global_buffer
      - .address_space:  global
        .offset:         8
        .size:           8
        .value_kind:     global_buffer
      - .offset:         16
        .size:           4
        .value_kind:     by_value
    .group_segment_fixed_size: 260
    .kernarg_segment_align: 8
    .kernarg_segment_size: 20
    .language:       OpenCL C
    .language_version:
      - 2
      - 0
    .max_flat_workgroup_size: 65
    .name:           _Z21shuffle_offset_kernelILj65EiEvPT0_S1_i
    .private_segment_fixed_size: 0
    .sgpr_count:     12
    .sgpr_spill_count: 0
    .symbol:         _Z21shuffle_offset_kernelILj65EiEvPT0_S1_i.kd
    .uniform_work_group_size: 1
    .uses_dynamic_stack: false
    .vgpr_count:     5
    .vgpr_spill_count: 0
    .wavefront_size: 64
  - .args:
      - .address_space:  global
        .offset:         0
        .size:           8
        .value_kind:     global_buffer
      - .address_space:  global
        .offset:         8
        .size:           8
        .value_kind:     global_buffer
      - .offset:         16
        .size:           4
        .value_kind:     by_value
    .group_segment_fixed_size: 2048
    .kernarg_segment_align: 8
    .kernarg_segment_size: 20
    .language:       OpenCL C
    .language_version:
      - 2
      - 0
    .max_flat_workgroup_size: 512
    .name:           _Z21shuffle_offset_kernelILj512EiEvPT0_S1_i
    .private_segment_fixed_size: 0
    .sgpr_count:     12
    .sgpr_spill_count: 0
    .symbol:         _Z21shuffle_offset_kernelILj512EiEvPT0_S1_i.kd
    .uniform_work_group_size: 1
    .uses_dynamic_stack: false
    .vgpr_count:     5
    .vgpr_spill_count: 0
    .wavefront_size: 64
  - .args:
      - .address_space:  global
        .offset:         0
        .size:           8
        .value_kind:     global_buffer
      - .address_space:  global
        .offset:         8
        .size:           8
        .value_kind:     global_buffer
      - .offset:         16
        .size:           4
        .value_kind:     by_value
    .group_segment_fixed_size: 1024
    .kernarg_segment_align: 8
    .kernarg_segment_size: 20
    .language:       OpenCL C
    .language_version:
      - 2
      - 0
    .max_flat_workgroup_size: 256
    .name:           _Z21shuffle_offset_kernelILj256EiEvPT0_S1_i
    .private_segment_fixed_size: 0
    .sgpr_count:     12
    .sgpr_spill_count: 0
    .symbol:         _Z21shuffle_offset_kernelILj256EiEvPT0_S1_i.kd
    .uniform_work_group_size: 1
    .uses_dynamic_stack: false
    .vgpr_count:     5
    .vgpr_spill_count: 0
    .wavefront_size: 64
  - .args:
      - .address_space:  global
        .offset:         0
        .size:           8
        .value_kind:     global_buffer
      - .address_space:  global
        .offset:         8
        .size:           8
        .value_kind:     global_buffer
      - .offset:         16
        .size:           4
        .value_kind:     by_value
    .group_segment_fixed_size: 512
    .kernarg_segment_align: 8
    .kernarg_segment_size: 20
    .language:       OpenCL C
    .language_version:
      - 2
      - 0
    .max_flat_workgroup_size: 128
    .name:           _Z21shuffle_offset_kernelILj128EiEvPT0_S1_i
    .private_segment_fixed_size: 0
    .sgpr_count:     12
    .sgpr_spill_count: 0
    .symbol:         _Z21shuffle_offset_kernelILj128EiEvPT0_S1_i.kd
    .uniform_work_group_size: 1
    .uses_dynamic_stack: false
    .vgpr_count:     5
    .vgpr_spill_count: 0
    .wavefront_size: 64
  - .args:
      - .address_space:  global
        .offset:         0
        .size:           8
        .value_kind:     global_buffer
      - .address_space:  global
        .offset:         8
        .size:           8
        .value_kind:     global_buffer
      - .offset:         16
        .size:           4
        .value_kind:     by_value
    .group_segment_fixed_size: 256
    .kernarg_segment_align: 8
    .kernarg_segment_size: 20
    .language:       OpenCL C
    .language_version:
      - 2
      - 0
    .max_flat_workgroup_size: 64
    .name:           _Z21shuffle_offset_kernelILj64EiEvPT0_S1_i
    .private_segment_fixed_size: 0
    .sgpr_count:     12
    .sgpr_spill_count: 0
    .symbol:         _Z21shuffle_offset_kernelILj64EiEvPT0_S1_i.kd
    .uniform_work_group_size: 1
    .uses_dynamic_stack: false
    .vgpr_count:     5
    .vgpr_spill_count: 0
    .wavefront_size: 64
  - .args:
      - .address_space:  global
        .offset:         0
        .size:           8
        .value_kind:     global_buffer
      - .address_space:  global
        .offset:         8
        .size:           8
        .value_kind:     global_buffer
      - .offset:         16
        .size:           4
        .value_kind:     by_value
    .group_segment_fixed_size: 64
    .kernarg_segment_align: 8
    .kernarg_segment_size: 20
    .language:       OpenCL C
    .language_version:
      - 2
      - 0
    .max_flat_workgroup_size: 32
    .name:           _Z21shuffle_rotate_kernelILj32E12hip_bfloat16EvPT0_S2_i
    .private_segment_fixed_size: 0
    .sgpr_count:     12
    .sgpr_spill_count: 0
    .symbol:         _Z21shuffle_rotate_kernelILj32E12hip_bfloat16EvPT0_S2_i.kd
    .uniform_work_group_size: 1
    .uses_dynamic_stack: false
    .vgpr_count:     8
    .vgpr_spill_count: 0
    .wavefront_size: 64
  - .args:
      - .address_space:  global
        .offset:         0
        .size:           8
        .value_kind:     global_buffer
      - .address_space:  global
        .offset:         8
        .size:           8
        .value_kind:     global_buffer
      - .offset:         16
        .size:           4
        .value_kind:     by_value
    .group_segment_fixed_size: 64
    .kernarg_segment_align: 8
    .kernarg_segment_size: 20
    .language:       OpenCL C
    .language_version:
      - 2
      - 0
    .max_flat_workgroup_size: 32
    .name:           _Z21shuffle_rotate_kernelILj32E6__halfEvPT0_S2_i
    .private_segment_fixed_size: 0
    .sgpr_count:     12
    .sgpr_spill_count: 0
    .symbol:         _Z21shuffle_rotate_kernelILj32E6__halfEvPT0_S2_i.kd
    .uniform_work_group_size: 1
    .uses_dynamic_stack: false
    .vgpr_count:     8
    .vgpr_spill_count: 0
    .wavefront_size: 64
  - .args:
      - .address_space:  global
        .offset:         0
        .size:           8
        .value_kind:     global_buffer
      - .address_space:  global
        .offset:         8
        .size:           8
        .value_kind:     global_buffer
      - .offset:         16
        .size:           4
        .value_kind:     by_value
    .group_segment_fixed_size: 128
    .kernarg_segment_align: 8
    .kernarg_segment_size: 20
    .language:       OpenCL C
    .language_version:
      - 2
      - 0
    .max_flat_workgroup_size: 32
    .name:           _Z21shuffle_rotate_kernelILj32EfEvPT0_S1_i
    .private_segment_fixed_size: 0
    .sgpr_count:     12
    .sgpr_spill_count: 0
    .symbol:         _Z21shuffle_rotate_kernelILj32EfEvPT0_S1_i.kd
    .uniform_work_group_size: 1
    .uses_dynamic_stack: false
    .vgpr_count:     8
    .vgpr_spill_count: 0
    .wavefront_size: 64
  - .args:
      - .address_space:  global
        .offset:         0
        .size:           8
        .value_kind:     global_buffer
      - .address_space:  global
        .offset:         8
        .size:           8
        .value_kind:     global_buffer
      - .offset:         16
        .size:           4
        .value_kind:     by_value
    .group_segment_fixed_size: 3016
    .kernarg_segment_align: 8
    .kernarg_segment_size: 20
    .language:       OpenCL C
    .language_version:
      - 2
      - 0
    .max_flat_workgroup_size: 377
    .name:           _Z21shuffle_rotate_kernelILj377ElEvPT0_S1_i
    .private_segment_fixed_size: 0
    .sgpr_count:     12
    .sgpr_spill_count: 0
    .symbol:         _Z21shuffle_rotate_kernelILj377ElEvPT0_S1_i.kd
    .uniform_work_group_size: 1
    .uses_dynamic_stack: false
    .vgpr_count:     9
    .vgpr_spill_count: 0
    .wavefront_size: 64
  - .args:
      - .address_space:  global
        .offset:         0
        .size:           8
        .value_kind:     global_buffer
      - .address_space:  global
        .offset:         8
        .size:           8
        .value_kind:     global_buffer
      - .offset:         16
        .size:           4
        .value_kind:     by_value
    .group_segment_fixed_size: 2048
    .kernarg_segment_align: 8
    .kernarg_segment_size: 20
    .language:       OpenCL C
    .language_version:
      - 2
      - 0
    .max_flat_workgroup_size: 256
    .name:           _Z21shuffle_rotate_kernelILj256ElEvPT0_S1_i
    .private_segment_fixed_size: 0
    .sgpr_count:     12
    .sgpr_spill_count: 0
    .symbol:         _Z21shuffle_rotate_kernelILj256ElEvPT0_S1_i.kd
    .uniform_work_group_size: 1
    .uses_dynamic_stack: false
    .vgpr_count:     9
    .vgpr_spill_count: 0
    .wavefront_size: 64
  - .args:
      - .address_space:  global
        .offset:         0
        .size:           8
        .value_kind:     global_buffer
      - .address_space:  global
        .offset:         8
        .size:           8
        .value_kind:     global_buffer
      - .offset:         16
        .size:           4
        .value_kind:     by_value
    .group_segment_fixed_size: 512
    .kernarg_segment_align: 8
    .kernarg_segment_size: 20
    .language:       OpenCL C
    .language_version:
      - 2
      - 0
    .max_flat_workgroup_size: 64
    .name:           _Z21shuffle_rotate_kernelILj64ElEvPT0_S1_i
    .private_segment_fixed_size: 0
    .sgpr_count:     12
    .sgpr_spill_count: 0
    .symbol:         _Z21shuffle_rotate_kernelILj64ElEvPT0_S1_i.kd
    .uniform_work_group_size: 1
    .uses_dynamic_stack: false
    .vgpr_count:     9
    .vgpr_spill_count: 0
    .wavefront_size: 64
  - .args:
      - .address_space:  global
        .offset:         0
        .size:           8
        .value_kind:     global_buffer
      - .address_space:  global
        .offset:         8
        .size:           8
        .value_kind:     global_buffer
      - .offset:         16
        .size:           4
        .value_kind:     by_value
    .group_segment_fixed_size: 1508
    .kernarg_segment_align: 8
    .kernarg_segment_size: 20
    .language:       OpenCL C
    .language_version:
      - 2
      - 0
    .max_flat_workgroup_size: 377
    .name:           _Z21shuffle_rotate_kernelILj377EjEvPT0_S1_i
    .private_segment_fixed_size: 0
    .sgpr_count:     12
    .sgpr_spill_count: 0
    .symbol:         _Z21shuffle_rotate_kernelILj377EjEvPT0_S1_i.kd
    .uniform_work_group_size: 1
    .uses_dynamic_stack: false
    .vgpr_count:     8
    .vgpr_spill_count: 0
    .wavefront_size: 64
  - .args:
      - .address_space:  global
        .offset:         0
        .size:           8
        .value_kind:     global_buffer
      - .address_space:  global
        .offset:         8
        .size:           8
        .value_kind:     global_buffer
      - .offset:         16
        .size:           4
        .value_kind:     by_value
    .group_segment_fixed_size: 1024
    .kernarg_segment_align: 8
    .kernarg_segment_size: 20
    .language:       OpenCL C
    .language_version:
      - 2
      - 0
    .max_flat_workgroup_size: 256
    .name:           _Z21shuffle_rotate_kernelILj256EjEvPT0_S1_i
    .private_segment_fixed_size: 0
    .sgpr_count:     12
    .sgpr_spill_count: 0
    .symbol:         _Z21shuffle_rotate_kernelILj256EjEvPT0_S1_i.kd
    .uniform_work_group_size: 1
    .uses_dynamic_stack: false
    .vgpr_count:     8
    .vgpr_spill_count: 0
    .wavefront_size: 64
  - .args:
      - .address_space:  global
        .offset:         0
        .size:           8
        .value_kind:     global_buffer
      - .address_space:  global
        .offset:         8
        .size:           8
        .value_kind:     global_buffer
      - .offset:         16
        .size:           4
        .value_kind:     by_value
    .group_segment_fixed_size: 256
    .kernarg_segment_align: 8
    .kernarg_segment_size: 20
    .language:       OpenCL C
    .language_version:
      - 2
      - 0
    .max_flat_workgroup_size: 64
    .name:           _Z21shuffle_rotate_kernelILj64EjEvPT0_S1_i
    .private_segment_fixed_size: 0
    .sgpr_count:     12
    .sgpr_spill_count: 0
    .symbol:         _Z21shuffle_rotate_kernelILj64EjEvPT0_S1_i.kd
    .uniform_work_group_size: 1
    .uses_dynamic_stack: false
    .vgpr_count:     8
    .vgpr_spill_count: 0
    .wavefront_size: 64
  - .args:
      - .address_space:  global
        .offset:         0
        .size:           8
        .value_kind:     global_buffer
      - .address_space:  global
        .offset:         8
        .size:           8
        .value_kind:     global_buffer
      - .offset:         16
        .size:           4
        .value_kind:     by_value
    .group_segment_fixed_size: 1020
    .kernarg_segment_align: 8
    .kernarg_segment_size: 20
    .language:       OpenCL C
    .language_version:
      - 2
      - 0
    .max_flat_workgroup_size: 255
    .name:           _Z21shuffle_rotate_kernelILj255EiEvPT0_S1_i
    .private_segment_fixed_size: 0
    .sgpr_count:     12
    .sgpr_spill_count: 0
    .symbol:         _Z21shuffle_rotate_kernelILj255EiEvPT0_S1_i.kd
    .uniform_work_group_size: 1
    .uses_dynamic_stack: false
    .vgpr_count:     8
    .vgpr_spill_count: 0
    .wavefront_size: 64
  - .args:
      - .address_space:  global
        .offset:         0
        .size:           8
        .value_kind:     global_buffer
      - .address_space:  global
        .offset:         8
        .size:           8
        .value_kind:     global_buffer
      - .offset:         16
        .size:           4
        .value_kind:     by_value
    .group_segment_fixed_size: 648
    .kernarg_segment_align: 8
    .kernarg_segment_size: 20
    .language:       OpenCL C
    .language_version:
      - 2
      - 0
    .max_flat_workgroup_size: 162
    .name:           _Z21shuffle_rotate_kernelILj162EiEvPT0_S1_i
    .private_segment_fixed_size: 0
    .sgpr_count:     12
    .sgpr_spill_count: 0
    .symbol:         _Z21shuffle_rotate_kernelILj162EiEvPT0_S1_i.kd
    .uniform_work_group_size: 1
    .uses_dynamic_stack: false
    .vgpr_count:     8
    .vgpr_spill_count: 0
    .wavefront_size: 64
  - .args:
      - .address_space:  global
        .offset:         0
        .size:           8
        .value_kind:     global_buffer
      - .address_space:  global
        .offset:         8
        .size:           8
        .value_kind:     global_buffer
      - .offset:         16
        .size:           4
        .value_kind:     by_value
    .group_segment_fixed_size: 148
    .kernarg_segment_align: 8
    .kernarg_segment_size: 20
    .language:       OpenCL C
    .language_version:
      - 2
      - 0
    .max_flat_workgroup_size: 37
    .name:           _Z21shuffle_rotate_kernelILj37EiEvPT0_S1_i
    .private_segment_fixed_size: 0
    .sgpr_count:     11
    .sgpr_spill_count: 0
    .symbol:         _Z21shuffle_rotate_kernelILj37EiEvPT0_S1_i.kd
    .uniform_work_group_size: 1
    .uses_dynamic_stack: false
    .vgpr_count:     8
    .vgpr_spill_count: 0
    .wavefront_size: 64
  - .args:
      - .address_space:  global
        .offset:         0
        .size:           8
        .value_kind:     global_buffer
      - .address_space:  global
        .offset:         8
        .size:           8
        .value_kind:     global_buffer
      - .offset:         16
        .size:           4
        .value_kind:     by_value
    .group_segment_fixed_size: 260
    .kernarg_segment_align: 8
    .kernarg_segment_size: 20
    .language:       OpenCL C
    .language_version:
      - 2
      - 0
    .max_flat_workgroup_size: 65
    .name:           _Z21shuffle_rotate_kernelILj65EiEvPT0_S1_i
    .private_segment_fixed_size: 0
    .sgpr_count:     12
    .sgpr_spill_count: 0
    .symbol:         _Z21shuffle_rotate_kernelILj65EiEvPT0_S1_i.kd
    .uniform_work_group_size: 1
    .uses_dynamic_stack: false
    .vgpr_count:     8
    .vgpr_spill_count: 0
    .wavefront_size: 64
  - .args:
      - .address_space:  global
        .offset:         0
        .size:           8
        .value_kind:     global_buffer
      - .address_space:  global
        .offset:         8
        .size:           8
        .value_kind:     global_buffer
      - .offset:         16
        .size:           4
        .value_kind:     by_value
    .group_segment_fixed_size: 2048
    .kernarg_segment_align: 8
    .kernarg_segment_size: 20
    .language:       OpenCL C
    .language_version:
      - 2
      - 0
    .max_flat_workgroup_size: 512
    .name:           _Z21shuffle_rotate_kernelILj512EiEvPT0_S1_i
    .private_segment_fixed_size: 0
    .sgpr_count:     12
    .sgpr_spill_count: 0
    .symbol:         _Z21shuffle_rotate_kernelILj512EiEvPT0_S1_i.kd
    .uniform_work_group_size: 1
    .uses_dynamic_stack: false
    .vgpr_count:     8
    .vgpr_spill_count: 0
    .wavefront_size: 64
  - .args:
      - .address_space:  global
        .offset:         0
        .size:           8
        .value_kind:     global_buffer
      - .address_space:  global
        .offset:         8
        .size:           8
        .value_kind:     global_buffer
      - .offset:         16
        .size:           4
        .value_kind:     by_value
    .group_segment_fixed_size: 1024
    .kernarg_segment_align: 8
    .kernarg_segment_size: 20
    .language:       OpenCL C
    .language_version:
      - 2
      - 0
    .max_flat_workgroup_size: 256
    .name:           _Z21shuffle_rotate_kernelILj256EiEvPT0_S1_i
    .private_segment_fixed_size: 0
    .sgpr_count:     12
    .sgpr_spill_count: 0
    .symbol:         _Z21shuffle_rotate_kernelILj256EiEvPT0_S1_i.kd
    .uniform_work_group_size: 1
    .uses_dynamic_stack: false
    .vgpr_count:     8
    .vgpr_spill_count: 0
    .wavefront_size: 64
  - .args:
      - .address_space:  global
        .offset:         0
        .size:           8
        .value_kind:     global_buffer
      - .address_space:  global
        .offset:         8
        .size:           8
        .value_kind:     global_buffer
      - .offset:         16
        .size:           4
        .value_kind:     by_value
    .group_segment_fixed_size: 512
    .kernarg_segment_align: 8
    .kernarg_segment_size: 20
    .language:       OpenCL C
    .language_version:
      - 2
      - 0
    .max_flat_workgroup_size: 128
    .name:           _Z21shuffle_rotate_kernelILj128EiEvPT0_S1_i
    .private_segment_fixed_size: 0
    .sgpr_count:     12
    .sgpr_spill_count: 0
    .symbol:         _Z21shuffle_rotate_kernelILj128EiEvPT0_S1_i.kd
    .uniform_work_group_size: 1
    .uses_dynamic_stack: false
    .vgpr_count:     8
    .vgpr_spill_count: 0
    .wavefront_size: 64
  - .args:
      - .address_space:  global
        .offset:         0
        .size:           8
        .value_kind:     global_buffer
      - .address_space:  global
        .offset:         8
        .size:           8
        .value_kind:     global_buffer
      - .offset:         16
        .size:           4
        .value_kind:     by_value
    .group_segment_fixed_size: 256
    .kernarg_segment_align: 8
    .kernarg_segment_size: 20
    .language:       OpenCL C
    .language_version:
      - 2
      - 0
    .max_flat_workgroup_size: 64
    .name:           _Z21shuffle_rotate_kernelILj64EiEvPT0_S1_i
    .private_segment_fixed_size: 0
    .sgpr_count:     12
    .sgpr_spill_count: 0
    .symbol:         _Z21shuffle_rotate_kernelILj64EiEvPT0_S1_i.kd
    .uniform_work_group_size: 1
    .uses_dynamic_stack: false
    .vgpr_count:     8
    .vgpr_spill_count: 0
    .wavefront_size: 64
  - .args:
      - .address_space:  global
        .offset:         0
        .size:           8
        .value_kind:     global_buffer
      - .address_space:  global
        .offset:         8
        .size:           8
        .value_kind:     global_buffer
    .group_segment_fixed_size: 64
    .kernarg_segment_align: 8
    .kernarg_segment_size: 16
    .language:       OpenCL C
    .language_version:
      - 2
      - 0
    .max_flat_workgroup_size: 32
    .name:           _Z17shuffle_up_kernelILj32ELj128E12hip_bfloat16EvPT1_S2_
    .private_segment_fixed_size: 0
    .sgpr_count:     11
    .sgpr_spill_count: 0
    .symbol:         _Z17shuffle_up_kernelILj32ELj128E12hip_bfloat16EvPT1_S2_.kd
    .uniform_work_group_size: 1
    .uses_dynamic_stack: false
    .vgpr_count:     7
    .vgpr_spill_count: 0
    .wavefront_size: 64
  - .args:
      - .address_space:  global
        .offset:         0
        .size:           8
        .value_kind:     global_buffer
      - .address_space:  global
        .offset:         8
        .size:           8
        .value_kind:     global_buffer
    .group_segment_fixed_size: 64
    .kernarg_segment_align: 8
    .kernarg_segment_size: 16
    .language:       OpenCL C
    .language_version:
      - 2
      - 0
    .max_flat_workgroup_size: 32
    .name:           _Z17shuffle_up_kernelILj32ELj128E6__halfEvPT1_S2_
    .private_segment_fixed_size: 0
    .sgpr_count:     11
    .sgpr_spill_count: 0
    .symbol:         _Z17shuffle_up_kernelILj32ELj128E6__halfEvPT1_S2_.kd
    .uniform_work_group_size: 1
    .uses_dynamic_stack: false
    .vgpr_count:     7
    .vgpr_spill_count: 0
    .wavefront_size: 64
  - .args:
      - .address_space:  global
        .offset:         0
        .size:           8
        .value_kind:     global_buffer
      - .address_space:  global
        .offset:         8
        .size:           8
        .value_kind:     global_buffer
    .group_segment_fixed_size: 128
    .kernarg_segment_align: 8
    .kernarg_segment_size: 16
    .language:       OpenCL C
    .language_version:
      - 2
      - 0
    .max_flat_workgroup_size: 32
    .name:           _Z17shuffle_up_kernelILj32ELj128EfEvPT1_S1_
    .private_segment_fixed_size: 0
    .sgpr_count:     11
    .sgpr_spill_count: 0
    .symbol:         _Z17shuffle_up_kernelILj32ELj128EfEvPT1_S1_.kd
    .uniform_work_group_size: 1
    .uses_dynamic_stack: false
    .vgpr_count:     8
    .vgpr_spill_count: 0
    .wavefront_size: 64
  - .args:
      - .address_space:  global
        .offset:         0
        .size:           8
        .value_kind:     global_buffer
      - .address_space:  global
        .offset:         8
        .size:           8
        .value_kind:     global_buffer
    .group_segment_fixed_size: 3016
    .kernarg_segment_align: 8
    .kernarg_segment_size: 16
    .language:       OpenCL C
    .language_version:
      - 2
      - 0
    .max_flat_workgroup_size: 377
    .name:           _Z17shuffle_up_kernelILj377ELj128ElEvPT1_S1_
    .private_segment_fixed_size: 0
    .sgpr_count:     11
    .sgpr_spill_count: 0
    .symbol:         _Z17shuffle_up_kernelILj377ELj128ElEvPT1_S1_.kd
    .uniform_work_group_size: 1
    .uses_dynamic_stack: false
    .vgpr_count:     10
    .vgpr_spill_count: 0
    .wavefront_size: 64
  - .args:
      - .address_space:  global
        .offset:         0
        .size:           8
        .value_kind:     global_buffer
      - .address_space:  global
        .offset:         8
        .size:           8
        .value_kind:     global_buffer
    .group_segment_fixed_size: 2048
    .kernarg_segment_align: 8
    .kernarg_segment_size: 16
    .language:       OpenCL C
    .language_version:
      - 2
      - 0
    .max_flat_workgroup_size: 256
    .name:           _Z17shuffle_up_kernelILj256ELj128ElEvPT1_S1_
    .private_segment_fixed_size: 0
    .sgpr_count:     11
    .sgpr_spill_count: 0
    .symbol:         _Z17shuffle_up_kernelILj256ELj128ElEvPT1_S1_.kd
    .uniform_work_group_size: 1
    .uses_dynamic_stack: false
    .vgpr_count:     10
    .vgpr_spill_count: 0
    .wavefront_size: 64
  - .args:
      - .address_space:  global
        .offset:         0
        .size:           8
        .value_kind:     global_buffer
      - .address_space:  global
        .offset:         8
        .size:           8
        .value_kind:     global_buffer
    .group_segment_fixed_size: 512
    .kernarg_segment_align: 8
    .kernarg_segment_size: 16
    .language:       OpenCL C
    .language_version:
      - 2
      - 0
    .max_flat_workgroup_size: 64
    .name:           _Z17shuffle_up_kernelILj64ELj128ElEvPT1_S1_
    .private_segment_fixed_size: 0
    .sgpr_count:     11
    .sgpr_spill_count: 0
    .symbol:         _Z17shuffle_up_kernelILj64ELj128ElEvPT1_S1_.kd
    .uniform_work_group_size: 1
    .uses_dynamic_stack: false
    .vgpr_count:     10
    .vgpr_spill_count: 0
    .wavefront_size: 64
  - .args:
      - .address_space:  global
        .offset:         0
        .size:           8
        .value_kind:     global_buffer
      - .address_space:  global
        .offset:         8
        .size:           8
        .value_kind:     global_buffer
    .group_segment_fixed_size: 1508
    .kernarg_segment_align: 8
    .kernarg_segment_size: 16
    .language:       OpenCL C
    .language_version:
      - 2
      - 0
    .max_flat_workgroup_size: 377
    .name:           _Z17shuffle_up_kernelILj377ELj128EjEvPT1_S1_
    .private_segment_fixed_size: 0
    .sgpr_count:     11
    .sgpr_spill_count: 0
    .symbol:         _Z17shuffle_up_kernelILj377ELj128EjEvPT1_S1_.kd
    .uniform_work_group_size: 1
    .uses_dynamic_stack: false
    .vgpr_count:     8
    .vgpr_spill_count: 0
    .wavefront_size: 64
  - .args:
      - .address_space:  global
        .offset:         0
        .size:           8
        .value_kind:     global_buffer
      - .address_space:  global
        .offset:         8
        .size:           8
        .value_kind:     global_buffer
    .group_segment_fixed_size: 1024
    .kernarg_segment_align: 8
    .kernarg_segment_size: 16
    .language:       OpenCL C
    .language_version:
      - 2
      - 0
    .max_flat_workgroup_size: 256
    .name:           _Z17shuffle_up_kernelILj256ELj128EjEvPT1_S1_
    .private_segment_fixed_size: 0
    .sgpr_count:     11
    .sgpr_spill_count: 0
    .symbol:         _Z17shuffle_up_kernelILj256ELj128EjEvPT1_S1_.kd
    .uniform_work_group_size: 1
    .uses_dynamic_stack: false
    .vgpr_count:     8
    .vgpr_spill_count: 0
    .wavefront_size: 64
  - .args:
      - .address_space:  global
        .offset:         0
        .size:           8
        .value_kind:     global_buffer
      - .address_space:  global
        .offset:         8
        .size:           8
        .value_kind:     global_buffer
    .group_segment_fixed_size: 256
    .kernarg_segment_align: 8
    .kernarg_segment_size: 16
    .language:       OpenCL C
    .language_version:
      - 2
      - 0
    .max_flat_workgroup_size: 64
    .name:           _Z17shuffle_up_kernelILj64ELj128EjEvPT1_S1_
    .private_segment_fixed_size: 0
    .sgpr_count:     11
    .sgpr_spill_count: 0
    .symbol:         _Z17shuffle_up_kernelILj64ELj128EjEvPT1_S1_.kd
    .uniform_work_group_size: 1
    .uses_dynamic_stack: false
    .vgpr_count:     8
    .vgpr_spill_count: 0
    .wavefront_size: 64
  - .args:
      - .address_space:  global
        .offset:         0
        .size:           8
        .value_kind:     global_buffer
      - .address_space:  global
        .offset:         8
        .size:           8
        .value_kind:     global_buffer
    .group_segment_fixed_size: 1020
    .kernarg_segment_align: 8
    .kernarg_segment_size: 16
    .language:       OpenCL C
    .language_version:
      - 2
      - 0
    .max_flat_workgroup_size: 255
    .name:           _Z17shuffle_up_kernelILj255ELj128EiEvPT1_S1_
    .private_segment_fixed_size: 0
    .sgpr_count:     11
    .sgpr_spill_count: 0
    .symbol:         _Z17shuffle_up_kernelILj255ELj128EiEvPT1_S1_.kd
    .uniform_work_group_size: 1
    .uses_dynamic_stack: false
    .vgpr_count:     8
    .vgpr_spill_count: 0
    .wavefront_size: 64
  - .args:
      - .address_space:  global
        .offset:         0
        .size:           8
        .value_kind:     global_buffer
      - .address_space:  global
        .offset:         8
        .size:           8
        .value_kind:     global_buffer
    .group_segment_fixed_size: 648
    .kernarg_segment_align: 8
    .kernarg_segment_size: 16
    .language:       OpenCL C
    .language_version:
      - 2
      - 0
    .max_flat_workgroup_size: 162
    .name:           _Z17shuffle_up_kernelILj162ELj128EiEvPT1_S1_
    .private_segment_fixed_size: 0
    .sgpr_count:     11
    .sgpr_spill_count: 0
    .symbol:         _Z17shuffle_up_kernelILj162ELj128EiEvPT1_S1_.kd
    .uniform_work_group_size: 1
    .uses_dynamic_stack: false
    .vgpr_count:     8
    .vgpr_spill_count: 0
    .wavefront_size: 64
  - .args:
      - .address_space:  global
        .offset:         0
        .size:           8
        .value_kind:     global_buffer
      - .address_space:  global
        .offset:         8
        .size:           8
        .value_kind:     global_buffer
    .group_segment_fixed_size: 148
    .kernarg_segment_align: 8
    .kernarg_segment_size: 16
    .language:       OpenCL C
    .language_version:
      - 2
      - 0
    .max_flat_workgroup_size: 37
    .name:           _Z17shuffle_up_kernelILj37ELj128EiEvPT1_S1_
    .private_segment_fixed_size: 0
    .sgpr_count:     11
    .sgpr_spill_count: 0
    .symbol:         _Z17shuffle_up_kernelILj37ELj128EiEvPT1_S1_.kd
    .uniform_work_group_size: 1
    .uses_dynamic_stack: false
    .vgpr_count:     8
    .vgpr_spill_count: 0
    .wavefront_size: 64
  - .args:
      - .address_space:  global
        .offset:         0
        .size:           8
        .value_kind:     global_buffer
      - .address_space:  global
        .offset:         8
        .size:           8
        .value_kind:     global_buffer
    .group_segment_fixed_size: 260
    .kernarg_segment_align: 8
    .kernarg_segment_size: 16
    .language:       OpenCL C
    .language_version:
      - 2
      - 0
    .max_flat_workgroup_size: 65
    .name:           _Z17shuffle_up_kernelILj65ELj128EiEvPT1_S1_
    .private_segment_fixed_size: 0
    .sgpr_count:     11
    .sgpr_spill_count: 0
    .symbol:         _Z17shuffle_up_kernelILj65ELj128EiEvPT1_S1_.kd
    .uniform_work_group_size: 1
    .uses_dynamic_stack: false
    .vgpr_count:     8
    .vgpr_spill_count: 0
    .wavefront_size: 64
  - .args:
      - .address_space:  global
        .offset:         0
        .size:           8
        .value_kind:     global_buffer
      - .address_space:  global
        .offset:         8
        .size:           8
        .value_kind:     global_buffer
    .group_segment_fixed_size: 2048
    .kernarg_segment_align: 8
    .kernarg_segment_size: 16
    .language:       OpenCL C
    .language_version:
      - 2
      - 0
    .max_flat_workgroup_size: 512
    .name:           _Z17shuffle_up_kernelILj512ELj128EiEvPT1_S1_
    .private_segment_fixed_size: 0
    .sgpr_count:     11
    .sgpr_spill_count: 0
    .symbol:         _Z17shuffle_up_kernelILj512ELj128EiEvPT1_S1_.kd
    .uniform_work_group_size: 1
    .uses_dynamic_stack: false
    .vgpr_count:     8
    .vgpr_spill_count: 0
    .wavefront_size: 64
  - .args:
      - .address_space:  global
        .offset:         0
        .size:           8
        .value_kind:     global_buffer
      - .address_space:  global
        .offset:         8
        .size:           8
        .value_kind:     global_buffer
    .group_segment_fixed_size: 1024
    .kernarg_segment_align: 8
    .kernarg_segment_size: 16
    .language:       OpenCL C
    .language_version:
      - 2
      - 0
    .max_flat_workgroup_size: 256
    .name:           _Z17shuffle_up_kernelILj256ELj128EiEvPT1_S1_
    .private_segment_fixed_size: 0
    .sgpr_count:     11
    .sgpr_spill_count: 0
    .symbol:         _Z17shuffle_up_kernelILj256ELj128EiEvPT1_S1_.kd
    .uniform_work_group_size: 1
    .uses_dynamic_stack: false
    .vgpr_count:     8
    .vgpr_spill_count: 0
    .wavefront_size: 64
  - .args:
      - .address_space:  global
        .offset:         0
        .size:           8
        .value_kind:     global_buffer
      - .address_space:  global
        .offset:         8
        .size:           8
        .value_kind:     global_buffer
    .group_segment_fixed_size: 512
    .kernarg_segment_align: 8
    .kernarg_segment_size: 16
    .language:       OpenCL C
    .language_version:
      - 2
      - 0
    .max_flat_workgroup_size: 128
    .name:           _Z17shuffle_up_kernelILj128ELj128EiEvPT1_S1_
    .private_segment_fixed_size: 0
    .sgpr_count:     11
    .sgpr_spill_count: 0
    .symbol:         _Z17shuffle_up_kernelILj128ELj128EiEvPT1_S1_.kd
    .uniform_work_group_size: 1
    .uses_dynamic_stack: false
    .vgpr_count:     8
    .vgpr_spill_count: 0
    .wavefront_size: 64
  - .args:
      - .address_space:  global
        .offset:         0
        .size:           8
        .value_kind:     global_buffer
      - .address_space:  global
        .offset:         8
        .size:           8
        .value_kind:     global_buffer
    .group_segment_fixed_size: 256
    .kernarg_segment_align: 8
    .kernarg_segment_size: 16
    .language:       OpenCL C
    .language_version:
      - 2
      - 0
    .max_flat_workgroup_size: 64
    .name:           _Z17shuffle_up_kernelILj64ELj128EiEvPT1_S1_
    .private_segment_fixed_size: 0
    .sgpr_count:     11
    .sgpr_spill_count: 0
    .symbol:         _Z17shuffle_up_kernelILj64ELj128EiEvPT1_S1_.kd
    .uniform_work_group_size: 1
    .uses_dynamic_stack: false
    .vgpr_count:     8
    .vgpr_spill_count: 0
    .wavefront_size: 64
  - .args:
      - .address_space:  global
        .offset:         0
        .size:           8
        .value_kind:     global_buffer
      - .address_space:  global
        .offset:         8
        .size:           8
        .value_kind:     global_buffer
    .group_segment_fixed_size: 64
    .kernarg_segment_align: 8
    .kernarg_segment_size: 16
    .language:       OpenCL C
    .language_version:
      - 2
      - 0
    .max_flat_workgroup_size: 32
    .name:           _Z19shuffle_down_kernelILj32ELj128E12hip_bfloat16EvPT1_S2_
    .private_segment_fixed_size: 0
    .sgpr_count:     11
    .sgpr_spill_count: 0
    .symbol:         _Z19shuffle_down_kernelILj32ELj128E12hip_bfloat16EvPT1_S2_.kd
    .uniform_work_group_size: 1
    .uses_dynamic_stack: false
    .vgpr_count:     7
    .vgpr_spill_count: 0
    .wavefront_size: 64
  - .args:
      - .address_space:  global
        .offset:         0
        .size:           8
        .value_kind:     global_buffer
      - .address_space:  global
        .offset:         8
        .size:           8
        .value_kind:     global_buffer
    .group_segment_fixed_size: 64
    .kernarg_segment_align: 8
    .kernarg_segment_size: 16
    .language:       OpenCL C
    .language_version:
      - 2
      - 0
    .max_flat_workgroup_size: 32
    .name:           _Z19shuffle_down_kernelILj32ELj128E6__halfEvPT1_S2_
    .private_segment_fixed_size: 0
    .sgpr_count:     11
    .sgpr_spill_count: 0
    .symbol:         _Z19shuffle_down_kernelILj32ELj128E6__halfEvPT1_S2_.kd
    .uniform_work_group_size: 1
    .uses_dynamic_stack: false
    .vgpr_count:     7
    .vgpr_spill_count: 0
    .wavefront_size: 64
  - .args:
      - .address_space:  global
        .offset:         0
        .size:           8
        .value_kind:     global_buffer
      - .address_space:  global
        .offset:         8
        .size:           8
        .value_kind:     global_buffer
    .group_segment_fixed_size: 128
    .kernarg_segment_align: 8
    .kernarg_segment_size: 16
    .language:       OpenCL C
    .language_version:
      - 2
      - 0
    .max_flat_workgroup_size: 32
    .name:           _Z19shuffle_down_kernelILj32ELj128EfEvPT1_S1_
    .private_segment_fixed_size: 0
    .sgpr_count:     11
    .sgpr_spill_count: 0
    .symbol:         _Z19shuffle_down_kernelILj32ELj128EfEvPT1_S1_.kd
    .uniform_work_group_size: 1
    .uses_dynamic_stack: false
    .vgpr_count:     8
    .vgpr_spill_count: 0
    .wavefront_size: 64
  - .args:
      - .address_space:  global
        .offset:         0
        .size:           8
        .value_kind:     global_buffer
      - .address_space:  global
        .offset:         8
        .size:           8
        .value_kind:     global_buffer
    .group_segment_fixed_size: 3016
    .kernarg_segment_align: 8
    .kernarg_segment_size: 16
    .language:       OpenCL C
    .language_version:
      - 2
      - 0
    .max_flat_workgroup_size: 377
    .name:           _Z19shuffle_down_kernelILj377ELj128ElEvPT1_S1_
    .private_segment_fixed_size: 0
    .sgpr_count:     11
    .sgpr_spill_count: 0
    .symbol:         _Z19shuffle_down_kernelILj377ELj128ElEvPT1_S1_.kd
    .uniform_work_group_size: 1
    .uses_dynamic_stack: false
    .vgpr_count:     10
    .vgpr_spill_count: 0
    .wavefront_size: 64
  - .args:
      - .address_space:  global
        .offset:         0
        .size:           8
        .value_kind:     global_buffer
      - .address_space:  global
        .offset:         8
        .size:           8
        .value_kind:     global_buffer
    .group_segment_fixed_size: 2048
    .kernarg_segment_align: 8
    .kernarg_segment_size: 16
    .language:       OpenCL C
    .language_version:
      - 2
      - 0
    .max_flat_workgroup_size: 256
    .name:           _Z19shuffle_down_kernelILj256ELj128ElEvPT1_S1_
    .private_segment_fixed_size: 0
    .sgpr_count:     11
    .sgpr_spill_count: 0
    .symbol:         _Z19shuffle_down_kernelILj256ELj128ElEvPT1_S1_.kd
    .uniform_work_group_size: 1
    .uses_dynamic_stack: false
    .vgpr_count:     10
    .vgpr_spill_count: 0
    .wavefront_size: 64
  - .args:
      - .address_space:  global
        .offset:         0
        .size:           8
        .value_kind:     global_buffer
      - .address_space:  global
        .offset:         8
        .size:           8
        .value_kind:     global_buffer
    .group_segment_fixed_size: 512
    .kernarg_segment_align: 8
    .kernarg_segment_size: 16
    .language:       OpenCL C
    .language_version:
      - 2
      - 0
    .max_flat_workgroup_size: 64
    .name:           _Z19shuffle_down_kernelILj64ELj128ElEvPT1_S1_
    .private_segment_fixed_size: 0
    .sgpr_count:     11
    .sgpr_spill_count: 0
    .symbol:         _Z19shuffle_down_kernelILj64ELj128ElEvPT1_S1_.kd
    .uniform_work_group_size: 1
    .uses_dynamic_stack: false
    .vgpr_count:     10
    .vgpr_spill_count: 0
    .wavefront_size: 64
  - .args:
      - .address_space:  global
        .offset:         0
        .size:           8
        .value_kind:     global_buffer
      - .address_space:  global
        .offset:         8
        .size:           8
        .value_kind:     global_buffer
    .group_segment_fixed_size: 1508
    .kernarg_segment_align: 8
    .kernarg_segment_size: 16
    .language:       OpenCL C
    .language_version:
      - 2
      - 0
    .max_flat_workgroup_size: 377
    .name:           _Z19shuffle_down_kernelILj377ELj128EjEvPT1_S1_
    .private_segment_fixed_size: 0
    .sgpr_count:     11
    .sgpr_spill_count: 0
    .symbol:         _Z19shuffle_down_kernelILj377ELj128EjEvPT1_S1_.kd
    .uniform_work_group_size: 1
    .uses_dynamic_stack: false
    .vgpr_count:     8
    .vgpr_spill_count: 0
    .wavefront_size: 64
  - .args:
      - .address_space:  global
        .offset:         0
        .size:           8
        .value_kind:     global_buffer
      - .address_space:  global
        .offset:         8
        .size:           8
        .value_kind:     global_buffer
    .group_segment_fixed_size: 1024
    .kernarg_segment_align: 8
    .kernarg_segment_size: 16
    .language:       OpenCL C
    .language_version:
      - 2
      - 0
    .max_flat_workgroup_size: 256
    .name:           _Z19shuffle_down_kernelILj256ELj128EjEvPT1_S1_
    .private_segment_fixed_size: 0
    .sgpr_count:     11
    .sgpr_spill_count: 0
    .symbol:         _Z19shuffle_down_kernelILj256ELj128EjEvPT1_S1_.kd
    .uniform_work_group_size: 1
    .uses_dynamic_stack: false
    .vgpr_count:     8
    .vgpr_spill_count: 0
    .wavefront_size: 64
  - .args:
      - .address_space:  global
        .offset:         0
        .size:           8
        .value_kind:     global_buffer
      - .address_space:  global
        .offset:         8
        .size:           8
        .value_kind:     global_buffer
    .group_segment_fixed_size: 256
    .kernarg_segment_align: 8
    .kernarg_segment_size: 16
    .language:       OpenCL C
    .language_version:
      - 2
      - 0
    .max_flat_workgroup_size: 64
    .name:           _Z19shuffle_down_kernelILj64ELj128EjEvPT1_S1_
    .private_segment_fixed_size: 0
    .sgpr_count:     11
    .sgpr_spill_count: 0
    .symbol:         _Z19shuffle_down_kernelILj64ELj128EjEvPT1_S1_.kd
    .uniform_work_group_size: 1
    .uses_dynamic_stack: false
    .vgpr_count:     8
    .vgpr_spill_count: 0
    .wavefront_size: 64
  - .args:
      - .address_space:  global
        .offset:         0
        .size:           8
        .value_kind:     global_buffer
      - .address_space:  global
        .offset:         8
        .size:           8
        .value_kind:     global_buffer
    .group_segment_fixed_size: 1020
    .kernarg_segment_align: 8
    .kernarg_segment_size: 16
    .language:       OpenCL C
    .language_version:
      - 2
      - 0
    .max_flat_workgroup_size: 255
    .name:           _Z19shuffle_down_kernelILj255ELj128EiEvPT1_S1_
    .private_segment_fixed_size: 0
    .sgpr_count:     11
    .sgpr_spill_count: 0
    .symbol:         _Z19shuffle_down_kernelILj255ELj128EiEvPT1_S1_.kd
    .uniform_work_group_size: 1
    .uses_dynamic_stack: false
    .vgpr_count:     8
    .vgpr_spill_count: 0
    .wavefront_size: 64
  - .args:
      - .address_space:  global
        .offset:         0
        .size:           8
        .value_kind:     global_buffer
      - .address_space:  global
        .offset:         8
        .size:           8
        .value_kind:     global_buffer
    .group_segment_fixed_size: 648
    .kernarg_segment_align: 8
    .kernarg_segment_size: 16
    .language:       OpenCL C
    .language_version:
      - 2
      - 0
    .max_flat_workgroup_size: 162
    .name:           _Z19shuffle_down_kernelILj162ELj128EiEvPT1_S1_
    .private_segment_fixed_size: 0
    .sgpr_count:     11
    .sgpr_spill_count: 0
    .symbol:         _Z19shuffle_down_kernelILj162ELj128EiEvPT1_S1_.kd
    .uniform_work_group_size: 1
    .uses_dynamic_stack: false
    .vgpr_count:     8
    .vgpr_spill_count: 0
    .wavefront_size: 64
  - .args:
      - .address_space:  global
        .offset:         0
        .size:           8
        .value_kind:     global_buffer
      - .address_space:  global
        .offset:         8
        .size:           8
        .value_kind:     global_buffer
    .group_segment_fixed_size: 148
    .kernarg_segment_align: 8
    .kernarg_segment_size: 16
    .language:       OpenCL C
    .language_version:
      - 2
      - 0
    .max_flat_workgroup_size: 37
    .name:           _Z19shuffle_down_kernelILj37ELj128EiEvPT1_S1_
    .private_segment_fixed_size: 0
    .sgpr_count:     11
    .sgpr_spill_count: 0
    .symbol:         _Z19shuffle_down_kernelILj37ELj128EiEvPT1_S1_.kd
    .uniform_work_group_size: 1
    .uses_dynamic_stack: false
    .vgpr_count:     8
    .vgpr_spill_count: 0
    .wavefront_size: 64
  - .args:
      - .address_space:  global
        .offset:         0
        .size:           8
        .value_kind:     global_buffer
      - .address_space:  global
        .offset:         8
        .size:           8
        .value_kind:     global_buffer
    .group_segment_fixed_size: 260
    .kernarg_segment_align: 8
    .kernarg_segment_size: 16
    .language:       OpenCL C
    .language_version:
      - 2
      - 0
    .max_flat_workgroup_size: 65
    .name:           _Z19shuffle_down_kernelILj65ELj128EiEvPT1_S1_
    .private_segment_fixed_size: 0
    .sgpr_count:     11
    .sgpr_spill_count: 0
    .symbol:         _Z19shuffle_down_kernelILj65ELj128EiEvPT1_S1_.kd
    .uniform_work_group_size: 1
    .uses_dynamic_stack: false
    .vgpr_count:     8
    .vgpr_spill_count: 0
    .wavefront_size: 64
  - .args:
      - .address_space:  global
        .offset:         0
        .size:           8
        .value_kind:     global_buffer
      - .address_space:  global
        .offset:         8
        .size:           8
        .value_kind:     global_buffer
    .group_segment_fixed_size: 2048
    .kernarg_segment_align: 8
    .kernarg_segment_size: 16
    .language:       OpenCL C
    .language_version:
      - 2
      - 0
    .max_flat_workgroup_size: 512
    .name:           _Z19shuffle_down_kernelILj512ELj128EiEvPT1_S1_
    .private_segment_fixed_size: 0
    .sgpr_count:     11
    .sgpr_spill_count: 0
    .symbol:         _Z19shuffle_down_kernelILj512ELj128EiEvPT1_S1_.kd
    .uniform_work_group_size: 1
    .uses_dynamic_stack: false
    .vgpr_count:     8
    .vgpr_spill_count: 0
    .wavefront_size: 64
  - .args:
      - .address_space:  global
        .offset:         0
        .size:           8
        .value_kind:     global_buffer
      - .address_space:  global
        .offset:         8
        .size:           8
        .value_kind:     global_buffer
    .group_segment_fixed_size: 1024
    .kernarg_segment_align: 8
    .kernarg_segment_size: 16
    .language:       OpenCL C
    .language_version:
      - 2
      - 0
    .max_flat_workgroup_size: 256
    .name:           _Z19shuffle_down_kernelILj256ELj128EiEvPT1_S1_
    .private_segment_fixed_size: 0
    .sgpr_count:     11
    .sgpr_spill_count: 0
    .symbol:         _Z19shuffle_down_kernelILj256ELj128EiEvPT1_S1_.kd
    .uniform_work_group_size: 1
    .uses_dynamic_stack: false
    .vgpr_count:     8
    .vgpr_spill_count: 0
    .wavefront_size: 64
  - .args:
      - .address_space:  global
        .offset:         0
        .size:           8
        .value_kind:     global_buffer
      - .address_space:  global
        .offset:         8
        .size:           8
        .value_kind:     global_buffer
    .group_segment_fixed_size: 512
    .kernarg_segment_align: 8
    .kernarg_segment_size: 16
    .language:       OpenCL C
    .language_version:
      - 2
      - 0
    .max_flat_workgroup_size: 128
    .name:           _Z19shuffle_down_kernelILj128ELj128EiEvPT1_S1_
    .private_segment_fixed_size: 0
    .sgpr_count:     11
    .sgpr_spill_count: 0
    .symbol:         _Z19shuffle_down_kernelILj128ELj128EiEvPT1_S1_.kd
    .uniform_work_group_size: 1
    .uses_dynamic_stack: false
    .vgpr_count:     8
    .vgpr_spill_count: 0
    .wavefront_size: 64
  - .args:
      - .address_space:  global
        .offset:         0
        .size:           8
        .value_kind:     global_buffer
      - .address_space:  global
        .offset:         8
        .size:           8
        .value_kind:     global_buffer
    .group_segment_fixed_size: 256
    .kernarg_segment_align: 8
    .kernarg_segment_size: 16
    .language:       OpenCL C
    .language_version:
      - 2
      - 0
    .max_flat_workgroup_size: 64
    .name:           _Z19shuffle_down_kernelILj64ELj128EiEvPT1_S1_
    .private_segment_fixed_size: 0
    .sgpr_count:     11
    .sgpr_spill_count: 0
    .symbol:         _Z19shuffle_down_kernelILj64ELj128EiEvPT1_S1_.kd
    .uniform_work_group_size: 1
    .uses_dynamic_stack: false
    .vgpr_count:     8
    .vgpr_spill_count: 0
    .wavefront_size: 64
amdhsa.target:   amdgcn-amd-amdhsa--gfx906
amdhsa.version:
  - 1
  - 2
...

	.end_amdgpu_metadata
